;; amdgpu-corpus repo=ROCm/rocFFT kind=compiled arch=gfx1201 opt=O3
	.text
	.amdgcn_target "amdgcn-amd-amdhsa--gfx1201"
	.amdhsa_code_object_version 6
	.protected	bluestein_single_fwd_len1088_dim1_sp_op_CI_CI ; -- Begin function bluestein_single_fwd_len1088_dim1_sp_op_CI_CI
	.globl	bluestein_single_fwd_len1088_dim1_sp_op_CI_CI
	.p2align	8
	.type	bluestein_single_fwd_len1088_dim1_sp_op_CI_CI,@function
bluestein_single_fwd_len1088_dim1_sp_op_CI_CI: ; @bluestein_single_fwd_len1088_dim1_sp_op_CI_CI
; %bb.0:
	s_load_b128 s[8:11], s[0:1], 0x28
	v_mul_u32_u24_e32 v1, 0x3c4, v0
	s_mov_b32 s2, exec_lo
	s_delay_alu instid0(VALU_DEP_1) | instskip(NEXT) | instid1(VALU_DEP_1)
	v_lshrrev_b32_e32 v1, 16, v1
	v_mad_co_u64_u32 v[60:61], null, ttmp9, 3, v[1:2]
	v_mov_b32_e32 v61, 0
                                        ; kill: def $vgpr2 killed $sgpr0 killed $exec
	s_wait_kmcnt 0x0
	s_delay_alu instid0(VALU_DEP_1)
	v_cmpx_gt_u64_e64 s[8:9], v[60:61]
	s_cbranch_execz .LBB0_15
; %bb.1:
	v_mul_hi_u32 v2, 0xaaaaaaab, v60
	v_mul_lo_u16 v1, 0x44, v1
	s_clause 0x1
	s_load_b64 s[8:9], s[0:1], 0x0
	s_load_b64 s[12:13], s[0:1], 0x38
	s_delay_alu instid0(VALU_DEP_1) | instskip(NEXT) | instid1(VALU_DEP_3)
	v_sub_nc_u16 v0, v0, v1
	v_lshrrev_b32_e32 v1, 1, v2
	s_delay_alu instid0(VALU_DEP_2) | instskip(SKIP_1) | instid1(VALU_DEP_3)
	v_and_b32_e32 v137, 0xffff, v0
	v_cmp_gt_u16_e32 vcc_lo, 64, v0
	v_lshl_add_u32 v0, v1, 1, v1
	s_delay_alu instid0(VALU_DEP_3) | instskip(SKIP_1) | instid1(VALU_DEP_3)
	v_lshlrev_b32_e32 v120, 3, v137
	v_or_b32_e32 v135, 64, v137
	v_sub_nc_u32_e32 v0, v60, v0
	v_or_b32_e32 v134, 0x80, v137
	v_or_b32_e32 v133, 0xc0, v137
	;; [unrolled: 1-line block ×4, first 2 shown]
	v_mul_u32_u24_e32 v136, 0x440, v0
	v_or_b32_e32 v130, 0x180, v137
	v_or_b32_e32 v129, 0x1c0, v137
	;; [unrolled: 1-line block ×11, first 2 shown]
	v_lshlrev_b32_e32 v138, 3, v0
	v_or_b32_e32 v119, 0x400, v137
	s_and_saveexec_b32 s3, vcc_lo
	s_cbranch_execz .LBB0_3
; %bb.2:
	s_load_b64 s[4:5], s[0:1], 0x18
	v_lshl_add_u32 v75, v136, 3, v120
	s_wait_kmcnt 0x0
	s_load_b128 s[4:7], s[4:5], 0x0
	s_wait_kmcnt 0x0
	v_mad_co_u64_u32 v[0:1], null, s6, v60, 0
	v_mad_co_u64_u32 v[2:3], null, s4, v137, 0
	v_mad_co_u64_u32 v[4:5], null, s4, v135, 0
	v_mad_co_u64_u32 v[6:7], null, s4, v134, 0
	v_mad_co_u64_u32 v[8:9], null, s4, v133, 0
	s_delay_alu instid0(VALU_DEP_4) | instskip(NEXT) | instid1(VALU_DEP_4)
	v_mad_co_u64_u32 v[18:19], null, s7, v60, v[1:2]
	v_mad_co_u64_u32 v[19:20], null, s5, v137, v[3:4]
	;; [unrolled: 1-line block ×4, first 2 shown]
	s_delay_alu instid0(VALU_DEP_4) | instskip(SKIP_3) | instid1(VALU_DEP_4)
	v_mov_b32_e32 v1, v18
	v_mad_co_u64_u32 v[21:22], null, s5, v134, v[7:8]
	v_mad_co_u64_u32 v[27:28], null, s4, v127, 0
	v_mov_b32_e32 v3, v19
	v_lshlrev_b64_e32 v[0:1], 3, v[0:1]
	v_mad_co_u64_u32 v[22:23], null, s5, v133, v[9:10]
	v_mad_co_u64_u32 v[12:13], null, s4, v131, 0
	;; [unrolled: 1-line block ×3, first 2 shown]
	v_mov_b32_e32 v5, v20
	v_lshlrev_b64_e32 v[2:3], 3, v[2:3]
	v_mov_b32_e32 v7, v21
	v_add_co_u32 v67, s2, s10, v0
	s_delay_alu instid0(VALU_DEP_4)
	v_lshlrev_b64_e32 v[4:5], 3, v[4:5]
	v_add_co_ci_u32_e64 v68, s2, s11, v1, s2
	v_mov_b32_e32 v9, v22
	v_mad_co_u64_u32 v[23:24], null, s5, v132, v[11:12]
	v_lshlrev_b64_e32 v[6:7], 3, v[6:7]
	v_add_co_u32 v2, s2, v67, v2
	s_wait_alu 0xf1ff
	v_add_co_ci_u32_e64 v3, s2, v68, v3, s2
	v_lshlrev_b64_e32 v[0:1], 3, v[8:9]
	v_add_co_u32 v4, s2, v67, v4
	s_wait_alu 0xf1ff
	v_add_co_ci_u32_e64 v5, s2, v68, v5, s2
	v_add_co_u32 v6, s2, v67, v6
	v_mov_b32_e32 v11, v23
	s_wait_alu 0xf1ff
	v_add_co_ci_u32_e64 v7, s2, v68, v7, s2
	v_add_co_u32 v0, s2, v67, v0
	s_wait_alu 0xf1ff
	v_add_co_ci_u32_e64 v1, s2, v68, v1, s2
	v_lshlrev_b64_e32 v[8:9], 3, v[10:11]
	s_clause 0x3
	global_load_b64 v[2:3], v[2:3], off
	global_load_b64 v[4:5], v[4:5], off
	;; [unrolled: 1-line block ×4, first 2 shown]
	s_clause 0x3
	global_load_b64 v[10:11], v120, s[8:9]
	global_load_b64 v[18:19], v120, s[8:9] offset:512
	global_load_b64 v[20:21], v120, s[8:9] offset:1024
	;; [unrolled: 1-line block ×3, first 2 shown]
	v_mad_co_u64_u32 v[14:15], null, s4, v130, 0
	v_mad_co_u64_u32 v[16:17], null, s4, v129, 0
	;; [unrolled: 1-line block ×3, first 2 shown]
	v_add_co_u32 v8, s2, v67, v8
	s_delay_alu instid0(VALU_DEP_4) | instskip(NEXT) | instid1(VALU_DEP_4)
	v_mad_co_u64_u32 v[24:25], null, s5, v131, v[13:14]
	v_mad_co_u64_u32 v[25:26], null, s5, v130, v[15:16]
	s_wait_alu 0xf1ff
	v_add_co_ci_u32_e64 v9, s2, v68, v9, s2
	v_mad_co_u64_u32 v[48:49], null, s4, v121, 0
	s_delay_alu instid0(VALU_DEP_4) | instskip(SKIP_2) | instid1(VALU_DEP_1)
	v_mov_b32_e32 v13, v24
	v_mad_co_u64_u32 v[61:62], null, s4, v119, 0
	v_mov_b32_e32 v15, v25
	v_lshlrev_b64_e32 v[14:15], 3, v[14:15]
	s_wait_loadcnt 0x3
	v_mul_f32_e32 v72, v2, v11
	s_wait_loadcnt 0x2
	v_mad_co_u64_u32 v[24:25], null, s5, v129, v[17:18]
	v_mad_co_u64_u32 v[25:26], null, s4, v128, 0
	s_wait_loadcnt 0x1
	v_dual_mul_f32 v76, v6, v21 :: v_dual_mul_f32 v71, v3, v11
	v_mul_f32_e32 v73, v5, v19
	s_delay_alu instid0(VALU_DEP_3) | instskip(SKIP_1) | instid1(VALU_DEP_2)
	v_dual_mov_b32 v17, v24 :: v_dual_mov_b32 v24, v26
	v_mov_b32_e32 v26, v28
	v_lshlrev_b64_e32 v[16:17], 3, v[16:17]
	s_delay_alu instid0(VALU_DEP_3) | instskip(NEXT) | instid1(VALU_DEP_3)
	v_mad_co_u64_u32 v[31:32], null, s5, v128, v[24:25]
	v_mad_co_u64_u32 v[32:33], null, s5, v127, v[26:27]
	;; [unrolled: 1-line block ×3, first 2 shown]
	v_mov_b32_e32 v24, v30
	s_delay_alu instid0(VALU_DEP_4) | instskip(NEXT) | instid1(VALU_DEP_4)
	v_mov_b32_e32 v26, v31
	v_mov_b32_e32 v28, v32
	s_delay_alu instid0(VALU_DEP_3) | instskip(NEXT) | instid1(VALU_DEP_3)
	v_mad_co_u64_u32 v[30:31], null, s5, v126, v[24:25]
	v_lshlrev_b64_e32 v[25:26], 3, v[25:26]
	v_mov_b32_e32 v24, v34
	s_delay_alu instid0(VALU_DEP_4) | instskip(NEXT) | instid1(VALU_DEP_2)
	v_lshlrev_b64_e32 v[27:28], 3, v[27:28]
	v_mad_co_u64_u32 v[41:42], null, s5, v125, v[24:25]
	v_lshlrev_b64_e32 v[29:30], 3, v[29:30]
	s_delay_alu instid0(VALU_DEP_2) | instskip(SKIP_2) | instid1(VALU_DEP_3)
	v_mov_b32_e32 v34, v41
	v_lshlrev_b64_e32 v[12:13], 3, v[12:13]
	v_mad_co_u64_u32 v[41:42], null, s4, v124, 0
	v_lshlrev_b64_e32 v[33:34], 3, v[33:34]
	s_delay_alu instid0(VALU_DEP_3) | instskip(SKIP_1) | instid1(VALU_DEP_4)
	v_add_co_u32 v12, s2, v67, v12
	s_wait_alu 0xf1ff
	v_add_co_ci_u32_e64 v13, s2, v68, v13, s2
	v_add_co_u32 v14, s2, v67, v14
	s_wait_alu 0xf1ff
	v_add_co_ci_u32_e64 v15, s2, v68, v15, s2
	;; [unrolled: 3-line block ×3, first 2 shown]
	s_clause 0x3
	global_load_b64 v[8:9], v[8:9], off
	global_load_b64 v[12:13], v[12:13], off
	;; [unrolled: 1-line block ×4, first 2 shown]
	s_clause 0x3
	global_load_b64 v[31:32], v120, s[8:9] offset:2048
	global_load_b64 v[35:36], v120, s[8:9] offset:2560
	;; [unrolled: 1-line block ×4, first 2 shown]
	v_add_co_u32 v24, s2, v67, v25
	s_wait_alu 0xf1ff
	v_add_co_ci_u32_e64 v25, s2, v68, v26, s2
	v_add_co_u32 v26, s2, v67, v27
	s_wait_alu 0xf1ff
	v_add_co_ci_u32_e64 v27, s2, v68, v28, s2
	;; [unrolled: 3-line block ×3, first 2 shown]
	v_mov_b32_e32 v30, v42
	v_add_co_u32 v33, s2, v67, v33
	s_wait_alu 0xf1ff
	v_add_co_ci_u32_e64 v34, s2, v68, v34, s2
	s_clause 0x3
	global_load_b64 v[24:25], v[24:25], off
	global_load_b64 v[26:27], v[26:27], off
	;; [unrolled: 1-line block ×4, first 2 shown]
	s_clause 0x3
	global_load_b64 v[50:51], v120, s[8:9] offset:4096
	global_load_b64 v[52:53], v120, s[8:9] offset:4608
	;; [unrolled: 1-line block ×4, first 2 shown]
	v_dual_mul_f32 v74, v4, v19 :: v_dual_mul_f32 v19, v7, v21
	s_wait_loadcnt 0x10
	v_mul_f32_e32 v21, v1, v23
	v_mul_f32_e32 v77, v0, v23
	v_fma_f32 v72, v3, v10, -v72
	v_fmac_f32_e32 v19, v6, v20
	v_fma_f32 v20, v7, v20, -v76
	s_wait_loadcnt 0xb
	v_mad_co_u64_u32 v[45:46], null, s5, v124, v[30:31]
	v_mad_co_u64_u32 v[46:47], null, s4, v122, 0
	v_mov_b32_e32 v30, v44
	v_mul_f32_e32 v78, v8, v32
	s_wait_loadcnt 0xa
	v_mul_f32_e32 v11, v13, v36
	s_wait_loadcnt 0x9
	v_dual_mul_f32 v79, v12, v36 :: v_dual_mul_f32 v36, v15, v38
	v_mov_b32_e32 v42, v45
	v_mad_co_u64_u32 v[44:45], null, s5, v123, v[30:31]
	v_mov_b32_e32 v30, v47
	s_wait_loadcnt 0x8
	v_dual_mul_f32 v80, v14, v38 :: v_dual_mul_f32 v81, v16, v40
	v_dual_mul_f32 v38, v17, v40 :: v_dual_fmac_f32 v73, v4, v18
	v_fmac_f32_e32 v36, v14, v37
	v_mad_co_u64_u32 v[58:59], null, s5, v122, v[30:31]
	v_mov_b32_e32 v30, v49
	v_lshlrev_b64_e32 v[43:44], 3, v[43:44]
	s_wait_loadcnt 0x3
	v_mul_f32_e32 v23, v25, v51
	s_wait_loadcnt 0x2
	v_dual_mul_f32 v82, v24, v51 :: v_dual_mul_f32 v83, v26, v53
	s_wait_loadcnt 0x1
	v_mul_f32_e32 v51, v29, v55
	v_mov_b32_e32 v47, v58
	v_mad_co_u64_u32 v[58:59], null, s5, v121, v[30:31]
	v_mov_b32_e32 v30, v62
	v_lshlrev_b64_e32 v[41:42], 3, v[41:42]
	s_delay_alu instid0(VALU_DEP_4)
	v_lshlrev_b64_e32 v[45:46], 3, v[46:47]
	s_wait_loadcnt 0x0
	v_dual_mul_f32 v84, v28, v55 :: v_dual_mul_f32 v85, v33, v57
	v_mad_co_u64_u32 v[62:63], null, s5, v119, v[30:31]
	v_mov_b32_e32 v49, v58
	v_add_co_u32 v41, s2, v67, v41
	s_wait_alu 0xf1ff
	v_add_co_ci_u32_e64 v42, s2, v68, v42, s2
	v_add_co_u32 v43, s2, v67, v43
	v_lshlrev_b64_e32 v[47:48], 3, v[48:49]
	s_wait_alu 0xf1ff
	v_add_co_ci_u32_e64 v44, s2, v68, v44, s2
	v_add_co_u32 v45, s2, v67, v45
	v_lshlrev_b64_e32 v[61:62], 3, v[61:62]
	s_wait_alu 0xf1ff
	v_add_co_ci_u32_e64 v46, s2, v68, v46, s2
	v_add_co_u32 v47, s2, v67, v47
	s_wait_alu 0xf1ff
	v_add_co_ci_u32_e64 v48, s2, v68, v48, s2
	v_add_co_u32 v61, s2, v67, v61
	s_wait_alu 0xf1ff
	v_add_co_ci_u32_e64 v62, s2, v68, v62, s2
	s_clause 0x1
	global_load_b64 v[41:42], v[41:42], off
	global_load_b64 v[43:44], v[43:44], off
	s_clause 0x2
	global_load_b64 v[58:59], v120, s[8:9] offset:6144
	global_load_b64 v[63:64], v120, s[8:9] offset:6656
	;; [unrolled: 1-line block ×3, first 2 shown]
	s_clause 0x1
	global_load_b64 v[45:46], v[45:46], off
	global_load_b64 v[47:48], v[47:48], off
	s_clause 0x1
	global_load_b64 v[67:68], v120, s[8:9] offset:7680
	global_load_b64 v[69:70], v120, s[8:9] offset:8192
	global_load_b64 v[61:62], v[61:62], off
	v_dual_mul_f32 v30, v9, v32 :: v_dual_mul_f32 v49, v27, v53
	v_mul_f32_e32 v32, v34, v57
	v_fmac_f32_e32 v71, v2, v10
	v_fma_f32 v74, v5, v18, -v74
	s_delay_alu instid0(VALU_DEP_4) | instskip(NEXT) | instid1(VALU_DEP_4)
	v_fmac_f32_e32 v30, v8, v31
	v_dual_fmac_f32 v21, v0, v22 :: v_dual_fmac_f32 v32, v33, v56
	v_fma_f32 v22, v1, v22, -v77
	v_fma_f32 v31, v9, v31, -v78
	v_fmac_f32_e32 v11, v12, v35
	v_fma_f32 v12, v13, v35, -v79
	v_fma_f32 v37, v15, v37, -v80
	v_dual_fmac_f32 v38, v16, v39 :: v_dual_fmac_f32 v49, v26, v52
	v_fma_f32 v39, v17, v39, -v81
	v_fmac_f32_e32 v51, v28, v54
	v_fma_f32 v33, v34, v56, -v85
	s_wait_loadcnt 0x6
	v_dual_mul_f32 v40, v42, v59 :: v_dual_mul_f32 v53, v44, v64
	v_dual_mul_f32 v59, v41, v59 :: v_dual_mul_f32 v86, v43, v64
	s_wait_loadcnt 0x4
	v_mul_f32_e32 v55, v46, v66
	s_wait_loadcnt 0x2
	v_dual_mul_f32 v66, v45, v66 :: v_dual_mul_f32 v57, v48, v68
	v_mul_f32_e32 v68, v47, v68
	s_wait_loadcnt 0x0
	v_mul_f32_e32 v64, v62, v70
	v_mul_f32_e32 v70, v61, v70
	v_fmac_f32_e32 v23, v24, v50
	v_fma_f32 v24, v25, v50, -v82
	v_fma_f32 v50, v27, v52, -v83
	v_fmac_f32_e32 v64, v61, v69
	v_fma_f32 v52, v29, v54, -v84
	v_dual_fmac_f32 v40, v41, v58 :: v_dual_fmac_f32 v53, v43, v63
	v_fma_f32 v41, v42, v58, -v59
	v_fma_f32 v54, v44, v63, -v86
	v_fmac_f32_e32 v55, v45, v65
	v_fma_f32 v56, v46, v65, -v66
	v_fmac_f32_e32 v57, v47, v67
	v_fma_f32 v58, v48, v67, -v68
	v_fma_f32 v65, v62, v69, -v70
	ds_store_b64 v138, v[71:72]
	ds_store_2addr_stride64_b64 v75, v[73:74], v[19:20] offset0:1 offset1:2
	ds_store_2addr_stride64_b64 v75, v[21:22], v[30:31] offset0:3 offset1:4
	;; [unrolled: 1-line block ×8, first 2 shown]
.LBB0_3:
	s_or_b32 exec_lo, exec_lo, s3
	s_clause 0x1
	s_load_b64 s[2:3], s[0:1], 0x20
	s_load_b64 s[4:5], s[0:1], 0x8
	v_dual_mov_b32 v0, 0 :: v_dual_lshlrev_b32 v139, 3, v136
	v_mov_b32_e32 v1, 0
	global_wb scope:SCOPE_SE
	s_wait_dscnt 0x0
	s_wait_kmcnt 0x0
	s_barrier_signal -1
	s_barrier_wait -1
	global_inv scope:SCOPE_SE
                                        ; implicit-def: $vgpr12
                                        ; implicit-def: $vgpr4
                                        ; implicit-def: $vgpr10
                                        ; implicit-def: $vgpr18
                                        ; implicit-def: $vgpr22
                                        ; implicit-def: $vgpr26
                                        ; implicit-def: $vgpr30
                                        ; implicit-def: $vgpr34
	s_and_saveexec_b32 s0, vcc_lo
	s_cbranch_execz .LBB0_5
; %bb.4:
	v_lshl_add_u32 v2, v137, 3, v139
	ds_load_b64 v[0:1], v138
	ds_load_2addr_stride64_b64 v[32:35], v2 offset0:1 offset1:2
	ds_load_2addr_stride64_b64 v[28:31], v2 offset0:3 offset1:4
	;; [unrolled: 1-line block ×8, first 2 shown]
.LBB0_5:
	s_wait_alu 0xfffe
	s_or_b32 exec_lo, exec_lo, s0
	s_wait_dscnt 0x0
	v_dual_sub_f32 v83, v33, v7 :: v_dual_add_f32 v50, v6, v32
	v_dual_sub_f32 v89, v32, v6 :: v_dual_add_f32 v54, v7, v33
	;; [unrolled: 1-line block ×3, first 2 shown]
	s_delay_alu instid0(VALU_DEP_3) | instskip(NEXT) | instid1(VALU_DEP_3)
	v_dual_mul_f32 v67, 0xbeb8f4ab, v83 :: v_dual_sub_f32 v84, v35, v5
	v_dual_mul_f32 v79, 0xbeb8f4ab, v89 :: v_dual_sub_f32 v90, v34, v4
	s_delay_alu instid0(VALU_DEP_2) | instskip(NEXT) | instid1(VALU_DEP_3)
	v_dual_add_f32 v51, v4, v34 :: v_dual_fmamk_f32 v2, v50, 0x3f6eb680, v67
	v_dual_mul_f32 v68, 0xbf2c7751, v84 :: v_dual_sub_f32 v93, v28, v10
	s_delay_alu instid0(VALU_DEP_3) | instskip(SKIP_3) | instid1(VALU_DEP_4)
	v_fma_f32 v3, 0x3f6eb680, v54, -v79
	v_add_f32_e32 v52, v5, v35
	v_dual_mul_f32 v70, 0xbf2c7751, v90 :: v_dual_add_f32 v53, v10, v28
	v_dual_add_f32 v2, v2, v0 :: v_dual_mul_f32 v69, 0xbf65296c, v86
	v_add_f32_e32 v3, v3, v1
	s_delay_alu instid0(VALU_DEP_3) | instskip(SKIP_3) | instid1(VALU_DEP_3)
	v_fma_f32 v37, 0x3f3d2fb0, v52, -v70
	v_fmamk_f32 v36, v51, 0x3f3d2fb0, v68
	v_dual_mul_f32 v72, 0xbf65296c, v93 :: v_dual_sub_f32 v91, v30, v8
	v_sub_f32_e32 v87, v31, v9
	v_dual_add_f32 v3, v37, v3 :: v_dual_add_f32 v2, v36, v2
	v_dual_fmamk_f32 v36, v53, 0x3ee437d1, v69 :: v_dual_sub_f32 v95, v24, v14
	s_delay_alu instid0(VALU_DEP_4) | instskip(SKIP_1) | instid1(VALU_DEP_3)
	v_fma_f32 v37, 0x3ee437d1, v55, -v72
	v_dual_add_f32 v56, v8, v30 :: v_dual_add_f32 v57, v9, v31
	v_dual_mul_f32 v71, 0xbf7ee86f, v87 :: v_dual_add_f32 v2, v36, v2
	v_dual_mul_f32 v74, 0xbf7ee86f, v91 :: v_dual_add_f32 v59, v15, v25
	v_dual_sub_f32 v88, v25, v15 :: v_dual_add_f32 v61, v12, v26
	s_delay_alu instid0(VALU_DEP_3) | instskip(NEXT) | instid1(VALU_DEP_3)
	v_dual_add_f32 v3, v37, v3 :: v_dual_fmamk_f32 v36, v56, 0x3dbcf732, v71
	v_fma_f32 v37, 0x3dbcf732, v57, -v74
	v_dual_add_f32 v58, v14, v24 :: v_dual_mul_f32 v77, 0xbf763a35, v95
	s_delay_alu instid0(VALU_DEP_3) | instskip(NEXT) | instid1(VALU_DEP_3)
	v_dual_mul_f32 v73, 0xbf763a35, v88 :: v_dual_add_f32 v2, v36, v2
	v_dual_add_f32 v3, v37, v3 :: v_dual_sub_f32 v92, v27, v13
	s_delay_alu instid0(VALU_DEP_2) | instskip(NEXT) | instid1(VALU_DEP_4)
	v_dual_add_f32 v63, v13, v27 :: v_dual_fmamk_f32 v36, v58, 0xbe8c1d8e, v73
	v_fma_f32 v37, 0xbe8c1d8e, v59, -v77
	v_dual_sub_f32 v96, v26, v12 :: v_dual_sub_f32 v97, v20, v18
	s_delay_alu instid0(VALU_DEP_3) | instskip(NEXT) | instid1(VALU_DEP_2)
	v_dual_mul_f32 v75, 0xbf4c4adb, v92 :: v_dual_add_f32 v2, v36, v2
	v_dual_add_f32 v3, v37, v3 :: v_dual_mul_f32 v80, 0xbf4c4adb, v96
	s_delay_alu instid0(VALU_DEP_3) | instskip(SKIP_1) | instid1(VALU_DEP_3)
	v_dual_sub_f32 v94, v21, v19 :: v_dual_mul_f32 v81, 0xbf06c442, v97
	v_dual_add_f32 v64, v19, v21 :: v_dual_add_f32 v65, v16, v22
	v_fma_f32 v37, 0xbf1a4643, v63, -v80
	v_sub_f32_e32 v98, v22, v16
	v_dual_fmamk_f32 v36, v61, 0xbf1a4643, v75 :: v_dual_sub_f32 v85, v23, v17
	s_delay_alu instid0(VALU_DEP_3) | instskip(SKIP_4) | instid1(VALU_DEP_4)
	v_dual_add_f32 v62, v18, v20 :: v_dual_add_f32 v3, v37, v3
	v_fma_f32 v37, 0xbf59a7d5, v64, -v81
	v_mul_f32_e32 v76, 0xbf06c442, v94
	v_add_f32_e32 v66, v17, v23
	v_mul_f32_e32 v82, 0xbe3c28d5, v98
	v_dual_mul_f32 v78, 0xbe3c28d5, v85 :: v_dual_add_f32 v3, v37, v3
	global_wb scope:SCOPE_SE
	s_barrier_signal -1
	v_fma_f32 v37, 0xbf7ba420, v66, -v82
	v_add_f32_e32 v2, v36, v2
	v_fmamk_f32 v36, v62, 0xbf59a7d5, v76
	s_barrier_wait -1
	global_inv scope:SCOPE_SE
	v_dual_add_f32 v3, v37, v3 :: v_dual_add_f32 v2, v36, v2
	v_fmamk_f32 v36, v65, 0xbf7ba420, v78
	s_delay_alu instid0(VALU_DEP_1)
	v_add_f32_e32 v2, v36, v2
	s_and_saveexec_b32 s0, vcc_lo
	s_cbranch_execz .LBB0_7
; %bb.6:
	v_mul_f32_e32 v114, 0x3ee437d1, v54
	v_mul_f32_e32 v110, 0xbf65296c, v83
	v_mul_f32_e32 v111, 0xbf4c4adb, v84
	v_mul_f32_e32 v155, 0xbf763a35, v83
	v_mul_f32_e32 v145, 0xbe3c28d5, v84
	v_fmamk_f32 v36, v89, 0x3f65296c, v114
	v_mul_f32_e32 v109, 0xbf1a4643, v52
	v_fmamk_f32 v38, v50, 0x3ee437d1, v110
	v_mul_f32_e32 v103, 0x3f3d2fb0, v59
	v_dual_mul_f32 v48, 0xbe8c1d8e, v54 :: v_dual_fmamk_f32 v43, v50, 0xbe8c1d8e, v155
	s_delay_alu instid0(VALU_DEP_4) | instskip(NEXT) | instid1(VALU_DEP_4)
	v_dual_add_f32 v36, v36, v1 :: v_dual_fmamk_f32 v37, v90, 0x3f4c4adb, v109
	v_dual_mul_f32 v105, 0xbf7ba420, v55 :: v_dual_add_f32 v38, v38, v0
	s_delay_alu instid0(VALU_DEP_3) | instskip(NEXT) | instid1(VALU_DEP_3)
	v_dual_mul_f32 v146, 0x3f763a35, v86 :: v_dual_add_f32 v43, v43, v0
	v_dual_add_f32 v36, v37, v36 :: v_dual_fmamk_f32 v37, v51, 0xbf1a4643, v111
	v_mul_f32_e32 v104, 0xbe8c1d8e, v57
	v_fmamk_f32 v42, v51, 0xbf7ba420, v145
	v_mul_f32_e32 v112, 0x3e3c28d5, v86
	v_dual_mul_f32 v101, 0x3dbcf732, v64 :: v_dual_mul_f32 v142, 0x3dbcf732, v54
	v_dual_add_f32 v37, v37, v38 :: v_dual_fmamk_f32 v38, v95, 0xbf2c7751, v103
	v_fmamk_f32 v39, v93, 0xbe3c28d5, v105
	v_fmamk_f32 v40, v91, 0xbf763a35, v104
	v_mul_f32_e32 v107, 0xbeb8f4ab, v92
	v_mul_f32_e32 v102, 0x3f6eb680, v63
	s_delay_alu instid0(VALU_DEP_4) | instskip(SKIP_3) | instid1(VALU_DEP_4)
	v_dual_fmamk_f32 v41, v89, 0x3f7ee86f, v142 :: v_dual_add_f32 v36, v39, v36
	v_mul_f32_e32 v99, 0xbf59a7d5, v66
	v_dual_fmamk_f32 v39, v53, 0xbf7ba420, v112 :: v_dual_mul_f32 v144, 0xbf7ba420, v52
	v_mul_f32_e32 v106, 0x3f2c7751, v88
	v_add_f32_e32 v36, v40, v36
	v_dual_mul_f32 v108, 0xbf7ee86f, v94 :: v_dual_mul_f32 v143, 0xbf7ee86f, v83
	s_delay_alu instid0(VALU_DEP_4) | instskip(NEXT) | instid1(VALU_DEP_3)
	v_add_f32_e32 v37, v39, v37
	v_dual_fmamk_f32 v39, v96, 0x3eb8f4ab, v102 :: v_dual_add_f32 v36, v38, v36
	v_mul_f32_e32 v113, 0x3f763a35, v87
	v_dual_fmamk_f32 v38, v58, 0x3f3d2fb0, v106 :: v_dual_mul_f32 v115, 0x3f3d2fb0, v66
	v_dual_mul_f32 v118, 0x3f2c7751, v85 :: v_dual_mul_f32 v159, 0x3f2c7751, v86
	s_delay_alu instid0(VALU_DEP_4) | instskip(NEXT) | instid1(VALU_DEP_4)
	v_add_f32_e32 v36, v39, v36
	v_fmamk_f32 v40, v56, 0xbe8c1d8e, v113
	v_fmamk_f32 v39, v61, 0x3f6eb680, v107
	v_mul_f32_e32 v157, 0x3f06c442, v84
	v_mul_f32_e32 v147, 0x3eb8f4ab, v87
	v_dual_mul_f32 v158, 0x3ee437d1, v57 :: v_dual_mul_f32 v47, 0x3ee437d1, v52
	v_dual_add_f32 v37, v40, v37 :: v_dual_fmamk_f32 v40, v97, 0x3f7ee86f, v101
	s_delay_alu instid0(VALU_DEP_4) | instskip(SKIP_2) | instid1(VALU_DEP_4)
	v_fmamk_f32 v44, v51, 0xbf59a7d5, v157
	v_mul_f32_e32 v161, 0xbf65296c, v87
	v_dual_mul_f32 v178, 0x3f2c7751, v94 :: v_dual_mul_f32 v193, 0x3f2c7751, v87
	v_dual_add_f32 v37, v38, v37 :: v_dual_add_f32 v36, v40, v36
	s_delay_alu instid0(VALU_DEP_4) | instskip(NEXT) | instid1(VALU_DEP_2)
	v_dual_fmamk_f32 v38, v98, 0x3f06c442, v99 :: v_dual_add_f32 v43, v44, v43
	v_dual_fmamk_f32 v44, v53, 0x3f3d2fb0, v159 :: v_dual_add_f32 v39, v39, v37
	v_mul_f32_e32 v149, 0x3f6eb680, v57
	s_delay_alu instid0(VALU_DEP_3)
	v_dual_add_f32 v37, v38, v36 :: v_dual_add_f32 v38, v41, v1
	v_fmamk_f32 v41, v50, 0x3dbcf732, v143
	v_mul_f32_e32 v141, 0xbf65296c, v88
	v_add_f32_e32 v43, v44, v43
	v_fmamk_f32 v44, v56, 0x3ee437d1, v161
	v_fmamk_f32 v167, v90, 0xbf65296c, v47
	v_add_f32_e32 v41, v41, v0
	v_mul_f32_e32 v163, 0xbe3c28d5, v88
	v_fmamk_f32 v40, v62, 0x3dbcf732, v108
	v_dual_mul_f32 v100, 0xbf06c442, v85 :: v_dual_mul_f32 v117, 0xbf06c442, v92
	s_delay_alu instid0(VALU_DEP_4) | instskip(SKIP_2) | instid1(VALU_DEP_3)
	v_dual_add_f32 v41, v42, v41 :: v_dual_fmamk_f32 v42, v53, 0xbe8c1d8e, v146
	v_dual_mul_f32 v140, 0xbf1a4643, v64 :: v_dual_add_f32 v43, v44, v43
	v_dual_fmamk_f32 v44, v58, 0xbf7ba420, v163 :: v_dual_mul_f32 v175, 0xbf7ba420, v63
	v_dual_add_f32 v41, v42, v41 :: v_dual_fmamk_f32 v42, v56, 0x3f6eb680, v147
	v_add_f32_e32 v36, v40, v39
	v_dual_fmamk_f32 v40, v65, 0xbf59a7d5, v100 :: v_dual_mul_f32 v151, 0xbf59a7d5, v63
	v_fmamk_f32 v39, v90, 0x3e3c28d5, v144
	s_delay_alu instid0(VALU_DEP_4) | instskip(SKIP_3) | instid1(VALU_DEP_3)
	v_add_f32_e32 v41, v42, v41
	v_dual_fmamk_f32 v42, v58, 0x3ee437d1, v141 :: v_dual_add_f32 v43, v44, v43
	v_mul_f32_e32 v153, 0xbf4c4adb, v85
	v_mul_f32_e32 v152, 0xbf1a4643, v66
	v_dual_mul_f32 v116, 0x3f4c4adb, v94 :: v_dual_add_f32 v41, v42, v41
	v_mul_f32_e32 v46, 0xbf06c442, v83
	v_fmamk_f32 v42, v61, 0xbf59a7d5, v117
	v_mul_f32_e32 v148, 0xbe8c1d8e, v55
	v_add_f32_e32 v36, v40, v36
	v_dual_add_f32 v38, v39, v38 :: v_dual_fmamk_f32 v45, v98, 0x3f4c4adb, v152
	s_delay_alu instid0(VALU_DEP_4) | instskip(SKIP_4) | instid1(VALU_DEP_4)
	v_add_f32_e32 v41, v42, v41
	v_fmamk_f32 v42, v62, 0xbf1a4643, v116
	v_fmamk_f32 v39, v93, 0xbf763a35, v148
	v_mul_f32_e32 v49, 0x3f65296c, v84
	v_mul_f32_e32 v150, 0x3ee437d1, v59
	v_dual_mul_f32 v165, 0x3f7ee86f, v92 :: v_dual_add_f32 v40, v42, v41
	s_delay_alu instid0(VALU_DEP_4)
	v_add_f32_e32 v38, v39, v38
	v_fmamk_f32 v39, v91, 0xbeb8f4ab, v149
	v_fmamk_f32 v169, v51, 0x3ee437d1, v49
	v_mul_f32_e32 v154, 0xbf59a7d5, v52
	v_fmamk_f32 v44, v61, 0x3dbcf732, v165
	v_dual_fmamk_f32 v42, v65, 0x3f3d2fb0, v118 :: v_dual_mul_f32 v177, 0x3f3d2fb0, v64
	s_delay_alu instid0(VALU_DEP_3)
	v_dual_add_f32 v38, v39, v38 :: v_dual_fmamk_f32 v41, v90, 0xbf06c442, v154
	v_fmamk_f32 v39, v95, 0x3f65296c, v150
	v_mul_f32_e32 v179, 0xbf7ba420, v54
	v_mul_f32_e32 v156, 0x3f3d2fb0, v55
	;; [unrolled: 1-line block ×4, first 2 shown]
	v_dual_add_f32 v38, v39, v38 :: v_dual_fmamk_f32 v39, v96, 0x3f06c442, v151
	v_fmamk_f32 v182, v89, 0x3e3c28d5, v179
	v_fmac_f32_e32 v179, 0xbe3c28d5, v89
	v_mul_f32_e32 v162, 0x3dbcf732, v63
	v_dual_mul_f32 v164, 0x3f6eb680, v64 :: v_dual_mul_f32 v173, 0x3f6eb680, v59
	v_dual_add_f32 v38, v39, v38 :: v_dual_fmamk_f32 v39, v97, 0xbf4c4adb, v140
	s_delay_alu instid0(VALU_DEP_4) | instskip(SKIP_2) | instid1(VALU_DEP_4)
	v_dual_add_f32 v179, v179, v1 :: v_dual_mul_f32 v190, 0xbf06c442, v86
	v_mul_f32_e32 v174, 0xbeb8f4ab, v88
	v_dual_mul_f32 v176, 0xbe3c28d5, v92 :: v_dual_mul_f32 v185, 0xbe3c28d5, v83
	v_dual_add_f32 v38, v39, v38 :: v_dual_fmamk_f32 v39, v98, 0xbf2c7751, v115
	s_delay_alu instid0(VALU_DEP_4) | instskip(SKIP_2) | instid1(VALU_DEP_4)
	v_fmamk_f32 v192, v53, 0xbf59a7d5, v190
	v_mul_f32_e32 v172, 0x3f4c4adb, v87
	v_dual_mul_f32 v171, 0xbf1a4643, v57 :: v_dual_mul_f32 v188, 0xbf1a4643, v59
	v_dual_add_f32 v39, v39, v38 :: v_dual_fmamk_f32 v38, v89, 0x3f763a35, v48
	v_mul_f32_e32 v181, 0xbf763a35, v85
	v_mul_f32_e32 v180, 0xbe8c1d8e, v66
	v_mul_f32_e32 v186, 0x3f3d2fb0, v57
	s_delay_alu instid0(VALU_DEP_4)
	v_dual_mul_f32 v191, 0x3ee437d1, v63 :: v_dual_add_f32 v38, v38, v1
	v_fmac_f32_e32 v47, 0x3f65296c, v90
	v_fmac_f32_e32 v48, 0xbf763a35, v89
	v_fma_f32 v157, 0xbf59a7d5, v51, -v157
	v_fma_f32 v143, 0x3dbcf732, v50, -v143
	v_add_f32_e32 v38, v41, v38
	v_fmamk_f32 v41, v93, 0xbf2c7751, v156
	v_fmac_f32_e32 v148, 0x3f763a35, v93
	v_fma_f32 v110, 0x3ee437d1, v50, -v110
	v_dual_add_f32 v143, v143, v0 :: v_dual_fmac_f32 v114, 0xbf65296c, v89
	s_delay_alu instid0(VALU_DEP_4) | instskip(SKIP_1) | instid1(VALU_DEP_3)
	v_dual_add_f32 v38, v41, v38 :: v_dual_fmamk_f32 v41, v91, 0x3f65296c, v158
	v_fma_f32 v145, 0xbf7ba420, v51, -v145
	v_dual_fmac_f32 v151, 0xbf06c442, v96 :: v_dual_add_f32 v114, v114, v1
	v_fmac_f32_e32 v140, 0x3f4c4adb, v97
	s_delay_alu instid0(VALU_DEP_4)
	v_dual_add_f32 v38, v41, v38 :: v_dual_fmamk_f32 v41, v95, 0x3e3c28d5, v160
	v_fma_f32 v117, 0xbf59a7d5, v61, -v117
	v_fma_f32 v147, 0x3f6eb680, v56, -v147
	v_fmac_f32_e32 v103, 0x3f2c7751, v95
	v_fma_f32 v116, 0xbf1a4643, v62, -v116
	v_dual_add_f32 v38, v41, v38 :: v_dual_fmamk_f32 v41, v96, 0xbf7ee86f, v162
	v_fma_f32 v155, 0xbe8c1d8e, v50, -v155
	v_fma_f32 v106, 0x3f3d2fb0, v58, -v106
	;; [unrolled: 1-line block ×3, first 2 shown]
	s_delay_alu instid0(VALU_DEP_4) | instskip(SKIP_4) | instid1(VALU_DEP_4)
	v_dual_mul_f32 v183, 0x3f6eb680, v52 :: v_dual_add_f32 v38, v41, v38
	v_fmamk_f32 v41, v97, 0x3eb8f4ab, v164
	v_fmac_f32_e32 v158, 0xbf65296c, v91
	v_fmac_f32_e32 v144, 0xbe3c28d5, v90
	v_fmac_f32_e32 v164, 0xbeb8f4ab, v97
	v_dual_fmac_f32 v142, 0xbf7ee86f, v89 :: v_dual_add_f32 v41, v41, v38
	v_add_f32_e32 v38, v42, v40
	v_add_f32_e32 v40, v44, v43
	v_fmac_f32_e32 v150, 0xbf65296c, v95
	s_delay_alu instid0(VALU_DEP_4) | instskip(SKIP_3) | instid1(VALU_DEP_4)
	v_add_f32_e32 v142, v142, v1
	v_add_f32_e32 v41, v45, v41
	v_fmamk_f32 v45, v50, 0xbf59a7d5, v46
	v_fmac_f32_e32 v149, 0x3eb8f4ab, v91
	v_dual_add_f32 v143, v145, v143 :: v_dual_add_f32 v142, v144, v142
	v_mul_f32_e32 v144, 0x3dbcf732, v56
	s_delay_alu instid0(VALU_DEP_4) | instskip(SKIP_1) | instid1(VALU_DEP_4)
	v_dual_add_f32 v45, v45, v0 :: v_dual_fmac_f32 v156, 0x3f2c7751, v93
	v_fma_f32 v145, 0xbe8c1d8e, v53, -v146
	v_dual_add_f32 v142, v148, v142 :: v_dual_fmac_f32 v105, 0x3e3c28d5, v93
	s_delay_alu instid0(VALU_DEP_3) | instskip(SKIP_4) | instid1(VALU_DEP_4)
	v_add_f32_e32 v45, v169, v45
	v_fmamk_f32 v169, v53, 0x3dbcf732, v170
	v_fmac_f32_e32 v154, 0x3f06c442, v90
	v_dual_fmac_f32 v162, 0x3f7ee86f, v96 :: v_dual_add_f32 v143, v145, v143
	v_mul_f32_e32 v145, 0xbf59a7d5, v64
	v_add_f32_e32 v45, v169, v45
	v_fmamk_f32 v169, v56, 0xbf1a4643, v172
	s_delay_alu instid0(VALU_DEP_4) | instskip(SKIP_2) | instid1(VALU_DEP_4)
	v_dual_mul_f32 v148, 0xbe8c1d8e, v58 :: v_dual_add_f32 v143, v147, v143
	v_mul_f32_e32 v147, 0xbf7ba420, v66
	v_fmac_f32_e32 v115, 0x3f2c7751, v98
	v_add_f32_e32 v45, v169, v45
	v_fmamk_f32 v169, v58, 0x3f6eb680, v174
	v_fmac_f32_e32 v160, 0xbe3c28d5, v95
	v_fmac_f32_e32 v102, 0xbeb8f4ab, v96
	v_dual_fmac_f32 v101, 0xbf7ee86f, v97 :: v_dual_add_f32 v32, v32, v0
	s_delay_alu instid0(VALU_DEP_4) | instskip(SKIP_2) | instid1(VALU_DEP_2)
	v_add_f32_e32 v45, v169, v45
	v_fmamk_f32 v169, v61, 0xbf7ba420, v176
	v_mul_f32_e32 v166, 0xbeb8f4ab, v94
	v_dual_add_f32 v32, v34, v32 :: v_dual_add_f32 v45, v169, v45
	s_delay_alu instid0(VALU_DEP_2) | instskip(SKIP_4) | instid1(VALU_DEP_4)
	v_fmamk_f32 v42, v62, 0x3f6eb680, v166
	v_fmamk_f32 v169, v62, 0x3f3d2fb0, v178
	v_mul_f32_e32 v44, 0xbf59a7d5, v54
	v_fma_f32 v178, 0x3f3d2fb0, v62, -v178
	v_mul_f32_e32 v187, 0x3eb8f4ab, v84
	v_dual_add_f32 v40, v42, v40 :: v_dual_add_f32 v45, v169, v45
	s_delay_alu instid0(VALU_DEP_4) | instskip(SKIP_1) | instid1(VALU_DEP_4)
	v_fmamk_f32 v42, v89, 0x3f06c442, v44
	v_fmamk_f32 v169, v65, 0xbe8c1d8e, v181
	;; [unrolled: 1-line block ×3, first 2 shown]
	v_mul_f32_e32 v168, 0x3dbcf732, v55
	v_fmac_f32_e32 v44, 0xbf06c442, v89
	v_add_f32_e32 v42, v42, v1
	v_add_f32_e32 v28, v28, v32
	s_delay_alu instid0(VALU_DEP_3) | instskip(NEXT) | instid1(VALU_DEP_3)
	v_add_f32_e32 v44, v44, v1
	v_dual_add_f32 v42, v167, v42 :: v_dual_fmamk_f32 v167, v93, 0x3f7ee86f, v168
	s_delay_alu instid0(VALU_DEP_3) | instskip(NEXT) | instid1(VALU_DEP_3)
	v_add_f32_e32 v28, v30, v28
	v_add_f32_e32 v47, v47, v44
	s_delay_alu instid0(VALU_DEP_3) | instskip(SKIP_1) | instid1(VALU_DEP_4)
	v_add_f32_e32 v42, v167, v42
	v_fmamk_f32 v167, v91, 0xbf4c4adb, v171
	v_dual_fmac_f32 v171, 0x3f4c4adb, v91 :: v_dual_add_f32 v24, v24, v28
	s_delay_alu instid0(VALU_DEP_2) | instskip(NEXT) | instid1(VALU_DEP_2)
	v_add_f32_e32 v42, v167, v42
	v_dual_fmamk_f32 v167, v95, 0x3eb8f4ab, v173 :: v_dual_add_f32 v24, v26, v24
	s_delay_alu instid0(VALU_DEP_1) | instskip(NEXT) | instid1(VALU_DEP_2)
	v_dual_add_f32 v42, v167, v42 :: v_dual_fmamk_f32 v167, v96, 0x3e3c28d5, v175
	v_add_f32_e32 v20, v20, v24
	s_delay_alu instid0(VALU_DEP_2)
	v_dual_add_f32 v42, v167, v42 :: v_dual_fmamk_f32 v43, v65, 0xbf1a4643, v153
	v_fmamk_f32 v167, v97, 0xbf2c7751, v177
	v_fmac_f32_e32 v177, 0x3f2c7751, v97
	v_fmac_f32_e32 v152, 0xbf4c4adb, v98
	v_fma_f32 v153, 0xbf1a4643, v65, -v153
	v_add_f32_e32 v40, v43, v40
	v_dual_add_f32 v42, v167, v42 :: v_dual_fmamk_f32 v43, v98, 0x3f763a35, v180
	v_add_f32_e32 v167, v182, v1
	v_fma_f32 v49, 0x3ee437d1, v51, -v49
	v_fmac_f32_e32 v180, 0xbf763a35, v98
	s_delay_alu instid0(VALU_DEP_4) | instskip(SKIP_2) | instid1(VALU_DEP_3)
	v_dual_add_f32 v20, v22, v20 :: v_dual_add_f32 v43, v43, v42
	v_fmamk_f32 v42, v50, 0xbf7ba420, v185
	v_fma_f32 v46, 0xbf59a7d5, v50, -v46
	v_add_f32_e32 v16, v16, v20
	s_delay_alu instid0(VALU_DEP_3) | instskip(NEXT) | instid1(VALU_DEP_1)
	v_add_f32_e32 v42, v42, v0
	v_dual_add_f32 v46, v46, v0 :: v_dual_add_f32 v189, v189, v42
	v_dual_add_f32 v42, v169, v45 :: v_dual_fmamk_f32 v169, v56, 0x3f3d2fb0, v193
	s_delay_alu instid0(VALU_DEP_2) | instskip(NEXT) | instid1(VALU_DEP_3)
	v_dual_add_f32 v49, v49, v46 :: v_dual_fmac_f32 v168, 0xbf7ee86f, v93
	v_add_f32_e32 v45, v192, v189
	v_mul_f32_e32 v189, 0xbf4c4adb, v88
	v_fmamk_f32 v182, v90, 0xbeb8f4ab, v183
	v_fmac_f32_e32 v183, 0x3eb8f4ab, v90
	v_add_f32_e32 v47, v168, v47
	v_add_f32_e32 v45, v169, v45
	v_fmamk_f32 v169, v58, 0xbf1a4643, v189
	v_mul_f32_e32 v184, 0xbf59a7d5, v55
	v_add_f32_e32 v167, v182, v167
	v_add_f32_e32 v179, v183, v179
	v_fma_f32 v183, 0xbf7ba420, v50, -v185
	v_add_f32_e32 v45, v169, v45
	v_fmamk_f32 v182, v93, 0x3f06c442, v184
	v_fmac_f32_e32 v184, 0xbf06c442, v93
	v_mul_f32_e32 v192, 0x3f65296c, v92
	v_add_f32_e32 v183, v183, v0
	s_delay_alu instid0(VALU_DEP_4) | instskip(NEXT) | instid1(VALU_DEP_4)
	v_add_f32_e32 v167, v182, v167
	v_dual_add_f32 v179, v184, v179 :: v_dual_fmamk_f32 v182, v91, 0xbf2c7751, v186
	s_delay_alu instid0(VALU_DEP_4) | instskip(NEXT) | instid1(VALU_DEP_2)
	v_fmamk_f32 v169, v61, 0x3ee437d1, v192
	v_dual_add_f32 v167, v182, v167 :: v_dual_fmamk_f32 v182, v95, 0x3f4c4adb, v188
	s_delay_alu instid0(VALU_DEP_2) | instskip(SKIP_4) | instid1(VALU_DEP_4)
	v_add_f32_e32 v45, v169, v45
	v_fma_f32 v170, 0x3dbcf732, v53, -v170
	v_fmac_f32_e32 v186, 0x3f2c7751, v91
	v_mul_f32_e32 v169, 0x3dbcf732, v66
	v_dual_add_f32 v167, v182, v167 :: v_dual_fmamk_f32 v182, v96, 0xbf65296c, v191
	v_add_f32_e32 v49, v170, v49
	v_fma_f32 v170, 0xbf1a4643, v56, -v172
	v_add_f32_e32 v179, v186, v179
	v_fmac_f32_e32 v188, 0xbf4c4adb, v95
	v_dual_add_f32 v167, v182, v167 :: v_dual_mul_f32 v182, 0xbe8c1d8e, v64
	s_delay_alu instid0(VALU_DEP_4) | instskip(SKIP_1) | instid1(VALU_DEP_4)
	v_add_f32_e32 v49, v170, v49
	v_fma_f32 v170, 0x3f6eb680, v58, -v174
	v_dual_fmamk_f32 v184, v98, 0xbf7ee86f, v169 :: v_dual_add_f32 v179, v188, v179
	s_delay_alu instid0(VALU_DEP_4) | instskip(NEXT) | instid1(VALU_DEP_3)
	v_fmamk_f32 v194, v97, 0x3f763a35, v182
	v_dual_mul_f32 v174, 0xbf06c442, v91 :: v_dual_add_f32 v49, v170, v49
	v_fma_f32 v170, 0xbf7ba420, v61, -v176
	s_delay_alu instid0(VALU_DEP_3) | instskip(SKIP_2) | instid1(VALU_DEP_4)
	v_dual_mul_f32 v176, 0x3f763a35, v84 :: v_dual_add_f32 v167, v194, v167
	v_mul_f32_e32 v194, 0xbf763a35, v94
	v_fma_f32 v181, 0xbe8c1d8e, v65, -v181
	v_dual_add_f32 v170, v170, v49 :: v_dual_add_f32 v171, v171, v47
	s_delay_alu instid0(VALU_DEP_3) | instskip(SKIP_1) | instid1(VALU_DEP_3)
	v_fmamk_f32 v185, v62, 0xbe8c1d8e, v194
	v_fmac_f32_e32 v182, 0xbf763a35, v97
	v_add_f32_e32 v170, v178, v170
	v_fma_f32 v187, 0x3f6eb680, v51, -v187
	v_fmac_f32_e32 v191, 0x3f65296c, v96
	v_add_f32_e32 v185, v185, v45
	v_dual_add_f32 v45, v184, v167 :: v_dual_mul_f32 v184, 0x3f7ee86f, v85
	s_delay_alu instid0(VALU_DEP_4) | instskip(SKIP_4) | instid1(VALU_DEP_4)
	v_add_f32_e32 v167, v187, v183
	v_fma_f32 v183, 0xbf59a7d5, v53, -v190
	v_dual_add_f32 v187, v48, v1 :: v_dual_add_f32 v48, v181, v170
	v_add_f32_e32 v179, v191, v179
	v_fmac_f32_e32 v175, 0xbe3c28d5, v96
	v_add_f32_e32 v167, v183, v167
	s_delay_alu instid0(VALU_DEP_4)
	v_add_f32_e32 v154, v154, v187
	v_fma_f32 v183, 0x3f3d2fb0, v56, -v193
	v_dual_fmamk_f32 v186, v65, 0x3dbcf732, v184 :: v_dual_add_f32 v179, v182, v179
	v_dual_fmac_f32 v169, 0x3f7ee86f, v98 :: v_dual_mul_f32 v178, 0x3f7ee86f, v88
	v_add_f32_e32 v181, v155, v0
	v_dual_fmac_f32 v173, 0xbeb8f4ab, v95 :: v_dual_add_f32 v154, v156, v154
	s_delay_alu instid0(VALU_DEP_3) | instskip(SKIP_1) | instid1(VALU_DEP_3)
	v_add_f32_e32 v47, v169, v179
	v_fma_f32 v168, 0xbe8c1d8e, v62, -v194
	v_dual_add_f32 v44, v186, v185 :: v_dual_add_f32 v169, v173, v171
	s_delay_alu instid0(VALU_DEP_4) | instskip(SKIP_3) | instid1(VALU_DEP_4)
	v_dual_mul_f32 v171, 0xbf4c4adb, v89 :: v_dual_add_f32 v158, v158, v154
	v_add_f32_e32 v167, v183, v167
	v_fma_f32 v183, 0xbf1a4643, v58, -v189
	v_mul_f32_e32 v185, 0xbe3c28d5, v97
	v_dual_mul_f32 v173, 0xbeb8f4ab, v93 :: v_dual_add_f32 v158, v160, v158
	v_mul_f32_e32 v179, 0x3f7ee86f, v95
	s_delay_alu instid0(VALU_DEP_4) | instskip(SKIP_4) | instid1(VALU_DEP_4)
	v_add_f32_e32 v167, v183, v167
	v_fma_f32 v183, 0x3ee437d1, v61, -v192
	v_fma_f32 v182, 0xbe8c1d8e, v51, -v176
	v_fmamk_f32 v186, v64, 0xbf7ba420, v185
	v_mul_f32_e32 v170, 0x3f65296c, v98
	v_dual_add_f32 v158, v162, v158 :: v_dual_add_f32 v167, v183, v167
	v_fma_f32 v162, 0xbf7ba420, v58, -v163
	v_fma_f32 v160, 0x3ee437d1, v56, -v161
	s_delay_alu instid0(VALU_DEP_4)
	v_fmamk_f32 v156, v66, 0x3ee437d1, v170
	v_mul_f32_e32 v183, 0xbeb8f4ab, v86
	v_add_f32_e32 v167, v168, v167
	v_fma_f32 v168, 0x3dbcf732, v65, -v184
	v_dual_mul_f32 v161, 0x3f3d2fb0, v51 :: v_dual_add_f32 v158, v164, v158
	v_mul_f32_e32 v89, 0xbf2c7751, v89
	s_delay_alu instid0(VALU_DEP_3) | instskip(SKIP_4) | instid1(VALU_DEP_4)
	v_dual_mul_f32 v93, 0xbf4c4adb, v93 :: v_dual_add_f32 v46, v168, v167
	v_dual_add_f32 v167, v175, v169 :: v_dual_fmamk_f32 v168, v54, 0xbf1a4643, v171
	v_mul_f32_e32 v169, 0x3f763a35, v90
	v_mul_f32_e32 v175, 0xbf4c4adb, v83
	;; [unrolled: 1-line block ×3, first 2 shown]
	v_dual_add_f32 v167, v177, v167 :: v_dual_add_f32 v168, v168, v1
	s_delay_alu instid0(VALU_DEP_4) | instskip(SKIP_1) | instid1(VALU_DEP_3)
	v_fmamk_f32 v172, v52, 0xbe8c1d8e, v169
	v_fmamk_f32 v177, v57, 0xbf59a7d5, v174
	v_dual_mul_f32 v88, 0x3f06c442, v88 :: v_dual_add_f32 v49, v180, v167
	v_fmamk_f32 v180, v59, 0x3dbcf732, v179
	s_delay_alu instid0(VALU_DEP_4) | instskip(SKIP_4) | instid1(VALU_DEP_4)
	v_add_f32_e32 v168, v172, v168
	v_fmamk_f32 v172, v55, 0x3f6eb680, v173
	v_mul_f32_e32 v184, 0xbf2c7751, v92
	v_mul_f32_e32 v92, 0x3f763a35, v92
	v_dual_mul_f32 v163, 0x3ee437d1, v53 :: v_dual_mul_f32 v164, 0x3ee437d1, v55
	v_add_f32_e32 v168, v172, v168
	v_fma_f32 v172, 0xbf1a4643, v50, -v175
	v_sub_f32_e32 v28, v161, v68
	v_fmac_f32_e32 v176, 0xbe8c1d8e, v51
	v_add_f32_e32 v32, v72, v164
	v_add_f32_e32 v167, v177, v168
	;; [unrolled: 1-line block ×3, first 2 shown]
	s_delay_alu instid0(VALU_DEP_1) | instskip(SKIP_4) | instid1(VALU_DEP_4)
	v_dual_add_f32 v167, v180, v167 :: v_dual_add_f32 v168, v182, v172
	v_mul_f32_e32 v182, 0xbf2c7751, v96
	v_mul_f32_e32 v96, 0x3f763a35, v96
	v_fma_f32 v172, 0x3f6eb680, v53, -v183
	v_fmac_f32_e32 v183, 0x3f6eb680, v53
	v_fmamk_f32 v180, v63, 0x3f3d2fb0, v182
	s_delay_alu instid0(VALU_DEP_3) | instskip(NEXT) | instid1(VALU_DEP_2)
	v_add_f32_e32 v168, v172, v168
	v_dual_add_f32 v167, v180, v167 :: v_dual_mul_f32 v180, 0xbe3c28d5, v94
	s_delay_alu instid0(VALU_DEP_1) | instskip(NEXT) | instid1(VALU_DEP_1)
	v_dual_mul_f32 v94, 0x3f65296c, v94 :: v_dual_add_f32 v167, v186, v167
	v_dual_add_f32 v155, v156, v167 :: v_dual_add_f32 v156, v157, v181
	v_fma_f32 v157, 0x3f3d2fb0, v53, -v159
	s_delay_alu instid0(VALU_DEP_1) | instskip(SKIP_1) | instid1(VALU_DEP_2)
	v_dual_add_f32 v156, v157, v156 :: v_dual_mul_f32 v177, 0xbf06c442, v87
	v_mul_f32_e32 v87, 0xbe3c28d5, v87
	v_dual_fmac_f32 v175, 0xbf1a4643, v50 :: v_dual_add_f32 v156, v160, v156
	v_mul_f32_e32 v160, 0x3f3d2fb0, v52
	s_delay_alu instid0(VALU_DEP_4) | instskip(SKIP_1) | instid1(VALU_DEP_4)
	v_fma_f32 v172, 0xbf59a7d5, v56, -v177
	v_fmac_f32_e32 v177, 0xbf59a7d5, v56
	v_add_f32_e32 v156, v162, v156
	v_fma_f32 v162, 0x3dbcf732, v61, -v165
	v_mul_f32_e32 v159, 0x3f6eb680, v50
	v_fma_f32 v165, 0x3f6eb680, v62, -v166
	v_add_f32_e32 v70, v70, v160
	v_add_f32_e32 v168, v172, v168
	v_dual_add_f32 v156, v162, v156 :: v_dual_mul_f32 v157, 0x3f6eb680, v54
	v_mul_f32_e32 v162, 0x3dbcf732, v57
	v_fma_f32 v172, 0x3dbcf732, v58, -v178
	v_mul_f32_e32 v166, 0xbf7ba420, v65
	s_delay_alu instid0(VALU_DEP_4) | instskip(SKIP_1) | instid1(VALU_DEP_4)
	v_dual_add_f32 v156, v165, v156 :: v_dual_mul_f32 v165, 0xbe8c1d8e, v59
	v_dual_add_f32 v142, v149, v142 :: v_dual_mul_f32 v149, 0xbf1a4643, v61
	v_add_f32_e32 v168, v172, v168
	v_fma_f32 v172, 0x3f3d2fb0, v61, -v184
	v_mul_f32_e32 v146, 0xbf1a4643, v63
	s_delay_alu instid0(VALU_DEP_4) | instskip(NEXT) | instid1(VALU_DEP_3)
	v_add_f32_e32 v142, v150, v142
	v_add_f32_e32 v168, v172, v168
	v_fma_f32 v172, 0xbf7ba420, v62, -v180
	s_delay_alu instid0(VALU_DEP_3) | instskip(SKIP_4) | instid1(VALU_DEP_4)
	v_add_f32_e32 v151, v151, v142
	v_fmac_f32_e32 v109, 0xbf4c4adb, v90
	v_add_f32_e32 v142, v152, v158
	v_fma_f32 v152, 0x3ee437d1, v58, -v141
	v_mul_f32_e32 v90, 0xbf7ee86f, v90
	v_dual_add_f32 v168, v172, v168 :: v_dual_add_f32 v109, v109, v114
	v_mul_f32_e32 v150, 0xbf59a7d5, v62
	v_add_f32_e32 v114, v140, v151
	v_add_f32_e32 v140, v152, v143
	v_mul_f32_e32 v172, 0x3f65296c, v85
	v_add_f32_e32 v105, v105, v109
	v_add_f32_e32 v109, v110, v0
	v_fma_f32 v110, 0xbf1a4643, v51, -v111
	v_dual_fmac_f32 v104, 0x3f763a35, v91 :: v_dual_add_f32 v111, v117, v140
	v_mul_f32_e32 v91, 0xbe3c28d5, v91
	v_add_f32_e32 v141, v153, v156
	s_delay_alu instid0(VALU_DEP_4) | instskip(NEXT) | instid1(VALU_DEP_4)
	v_add_f32_e32 v109, v110, v109
	v_dual_add_f32 v105, v104, v105 :: v_dual_add_f32 v104, v115, v114
	v_fma_f32 v110, 0xbf7ba420, v53, -v112
	v_add_f32_e32 v24, v80, v146
	v_sub_f32_e32 v20, v148, v73
	s_delay_alu instid0(VALU_DEP_4)
	v_add_f32_e32 v103, v103, v105
	v_add_f32_e32 v105, v116, v111
	;; [unrolled: 1-line block ×3, first 2 shown]
	v_fma_f32 v110, 0xbe8c1d8e, v56, -v113
	v_fma_f32 v111, 0x3f3d2fb0, v65, -v118
	v_add_f32_e32 v102, v102, v103
	v_fma_f32 v186, 0x3ee437d1, v65, -v172
	v_fmac_f32_e32 v172, 0x3ee437d1, v65
	v_add_f32_e32 v109, v110, v109
	s_delay_alu instid0(VALU_DEP_4) | instskip(SKIP_2) | instid1(VALU_DEP_4)
	v_dual_add_f32 v101, v101, v102 :: v_dual_fmamk_f32 v102, v54, 0x3f3d2fb0, v89
	v_add_f32_e32 v103, v111, v105
	v_mul_f32_e32 v95, 0x3f06c442, v95
	v_add_f32_e32 v105, v106, v109
	v_fma_f32 v106, 0x3f6eb680, v61, -v107
	v_dual_add_f32 v102, v102, v1 :: v_dual_fmamk_f32 v107, v52, 0x3dbcf732, v90
	v_mul_f32_e32 v109, 0xbf4c4adb, v86
	v_fma_f32 v111, 0xbe8c1d8e, v61, -v92
	s_delay_alu instid0(VALU_DEP_4) | instskip(SKIP_4) | instid1(VALU_DEP_4)
	v_add_f32_e32 v105, v106, v105
	v_fma_f32 v106, 0x3dbcf732, v62, -v108
	v_dual_mul_f32 v108, 0xbf2c7751, v83 :: v_dual_add_f32 v83, v107, v102
	v_fmamk_f32 v102, v55, 0xbf1a4643, v93
	v_mul_f32_e32 v107, 0xbf7ee86f, v84
	v_add_f32_e32 v105, v106, v105
	s_delay_alu instid0(VALU_DEP_4) | instskip(SKIP_2) | instid1(VALU_DEP_3)
	v_fma_f32 v106, 0x3f3d2fb0, v50, -v108
	v_add_f32_e32 v154, v186, v168
	v_add_f32_e32 v83, v102, v83
	;; [unrolled: 1-line block ×3, first 2 shown]
	v_fma_f32 v106, 0x3dbcf732, v51, -v107
	s_delay_alu instid0(VALU_DEP_1) | instskip(SKIP_1) | instid1(VALU_DEP_1)
	v_add_f32_e32 v86, v106, v102
	v_fma_f32 v102, 0xbf1a4643, v53, -v109
	v_dual_fmac_f32 v109, 0xbf1a4643, v53 :: v_dual_add_f32 v86, v102, v86
	v_fma_f32 v102, 0xbf7ba420, v56, -v87
	s_delay_alu instid0(VALU_DEP_1) | instskip(SKIP_2) | instid1(VALU_DEP_2)
	v_add_f32_e32 v86, v102, v86
	v_fmamk_f32 v84, v57, 0xbf7ba420, v91
	v_fma_f32 v102, 0xbf59a7d5, v58, -v88
	v_dual_add_f32 v83, v84, v83 :: v_dual_fmamk_f32 v84, v59, 0xbf59a7d5, v95
	s_delay_alu instid0(VALU_DEP_2) | instskip(NEXT) | instid1(VALU_DEP_2)
	v_dual_add_f32 v102, v102, v86 :: v_dual_fmac_f32 v107, 0x3dbcf732, v51
	v_dual_add_f32 v83, v84, v83 :: v_dual_fmamk_f32 v84, v63, 0xbe8c1d8e, v96
	s_delay_alu instid0(VALU_DEP_1) | instskip(SKIP_3) | instid1(VALU_DEP_1)
	v_add_f32_e32 v83, v84, v83
	v_fmamk_f32 v84, v64, 0x3ee437d1, v97
	v_fmac_f32_e32 v99, 0xbf06c442, v98
	v_mul_f32_e32 v98, 0x3eb8f4ab, v98
	v_fmamk_f32 v110, v66, 0x3f6eb680, v98
	s_delay_alu instid0(VALU_DEP_4) | instskip(NEXT) | instid1(VALU_DEP_4)
	v_add_f32_e32 v106, v84, v83
	v_add_f32_e32 v84, v99, v101
	;; [unrolled: 1-line block ×4, first 2 shown]
	v_fma_f32 v100, 0x3ee437d1, v62, -v94
	v_add_f32_e32 v79, v79, v157
	v_dual_mul_f32 v101, 0x3eb8f4ab, v85 :: v_dual_add_f32 v86, v110, v106
	v_fmac_f32_e32 v94, 0x3ee437d1, v62
	s_delay_alu instid0(VALU_DEP_3) | instskip(NEXT) | instid1(VALU_DEP_1)
	v_dual_add_f32 v34, v100, v99 :: v_dual_add_f32 v79, v79, v1
	v_dual_add_f32 v33, v33, v1 :: v_dual_add_f32 v70, v70, v79
	s_delay_alu instid0(VALU_DEP_1) | instskip(SKIP_1) | instid1(VALU_DEP_3)
	v_add_f32_e32 v33, v35, v33
	v_fma_f32 v35, 0x3f6eb680, v65, -v101
	v_dual_fmac_f32 v101, 0x3f6eb680, v65 :: v_dual_add_f32 v30, v32, v70
	s_delay_alu instid0(VALU_DEP_3) | instskip(SKIP_1) | instid1(VALU_DEP_4)
	v_add_f32_e32 v29, v29, v33
	v_sub_f32_e32 v33, v159, v67
	v_add_f32_e32 v85, v35, v34
	s_delay_alu instid0(VALU_DEP_3) | instskip(NEXT) | instid1(VALU_DEP_3)
	v_add_f32_e32 v29, v31, v29
	v_dual_add_f32 v31, v74, v162 :: v_dual_add_f32 v32, v33, v0
	s_delay_alu instid0(VALU_DEP_2) | instskip(NEXT) | instid1(VALU_DEP_2)
	v_add_f32_e32 v25, v25, v29
	v_dual_add_f32 v29, v31, v30 :: v_dual_add_f32 v26, v28, v32
	v_add_f32_e32 v30, v77, v165
	s_delay_alu instid0(VALU_DEP_3) | instskip(SKIP_1) | instid1(VALU_DEP_3)
	v_add_f32_e32 v25, v27, v25
	v_sub_f32_e32 v27, v163, v69
	v_add_f32_e32 v28, v30, v29
	s_delay_alu instid0(VALU_DEP_3) | instskip(NEXT) | instid1(VALU_DEP_3)
	v_add_f32_e32 v21, v21, v25
	v_dual_add_f32 v25, v27, v26 :: v_dual_sub_f32 v26, v144, v71
	s_delay_alu instid0(VALU_DEP_2) | instskip(SKIP_1) | instid1(VALU_DEP_3)
	v_dual_add_f32 v22, v24, v28 :: v_dual_add_f32 v21, v23, v21
	v_add_f32_e32 v23, v81, v145
	v_add_f32_e32 v24, v26, v25
	s_delay_alu instid0(VALU_DEP_3) | instskip(NEXT) | instid1(VALU_DEP_3)
	v_add_f32_e32 v17, v17, v21
	v_dual_add_f32 v21, v23, v22 :: v_dual_add_f32 v22, v82, v147
	s_delay_alu instid0(VALU_DEP_2) | instskip(NEXT) | instid1(VALU_DEP_4)
	v_dual_add_f32 v17, v19, v17 :: v_dual_add_f32 v18, v18, v16
	v_dual_add_f32 v19, v20, v24 :: v_dual_sub_f32 v20, v149, v75
	s_delay_alu instid0(VALU_DEP_2) | instskip(SKIP_1) | instid1(VALU_DEP_2)
	v_dual_add_f32 v13, v13, v17 :: v_dual_add_f32 v12, v12, v18
	v_fma_f32 v17, 0xbf1a4643, v54, -v171
	v_dual_add_f32 v13, v15, v13 :: v_dual_add_f32 v18, v20, v19
	v_sub_f32_e32 v19, v150, v76
	v_fma_f32 v15, 0xbe8c1d8e, v52, -v169
	s_delay_alu instid0(VALU_DEP_3) | instskip(SKIP_1) | instid1(VALU_DEP_4)
	v_dual_add_f32 v9, v9, v13 :: v_dual_add_f32 v12, v14, v12
	v_add_f32_e32 v14, v17, v1
	v_dual_add_f32 v16, v22, v21 :: v_dual_add_f32 v17, v19, v18
	s_delay_alu instid0(VALU_DEP_3) | instskip(SKIP_2) | instid1(VALU_DEP_3)
	v_dual_add_f32 v9, v11, v9 :: v_dual_sub_f32 v18, v166, v78
	v_fma_f32 v13, 0x3f6eb680, v55, -v173
	v_fma_f32 v11, 0xbf59a7d5, v57, -v174
	v_dual_add_f32 v5, v5, v9 :: v_dual_add_f32 v8, v8, v12
	v_add_f32_e32 v9, v175, v0
	v_dual_add_f32 v12, v15, v14 :: v_dual_add_f32 v15, v18, v17
	s_delay_alu instid0(VALU_DEP_3) | instskip(NEXT) | instid1(VALU_DEP_2)
	v_dual_add_f32 v5, v7, v5 :: v_dual_add_f32 v8, v10, v8
	v_dual_add_f32 v7, v176, v9 :: v_dual_add_f32 v10, v13, v12
	v_fma_f32 v9, 0x3f3d2fb0, v54, -v89
	s_delay_alu instid0(VALU_DEP_2) | instskip(NEXT) | instid1(VALU_DEP_3)
	v_dual_add_f32 v4, v4, v8 :: v_dual_add_f32 v7, v183, v7
	v_add_f32_e32 v8, v11, v10
	v_fma_f32 v10, 0x3dbcf732, v59, -v179
	s_delay_alu instid0(VALU_DEP_3) | instskip(NEXT) | instid1(VALU_DEP_4)
	v_dual_add_f32 v1, v9, v1 :: v_dual_add_f32 v4, v6, v4
	v_add_f32_e32 v7, v177, v7
	v_fma_f32 v9, 0xbf7ba420, v64, -v185
	s_delay_alu instid0(VALU_DEP_4) | instskip(SKIP_3) | instid1(VALU_DEP_3)
	v_add_f32_e32 v6, v10, v8
	v_fma_f32 v8, 0x3f3d2fb0, v63, -v182
	v_fma_f32 v10, 0x3ee437d1, v64, -v97
	;; [unrolled: 1-line block ×3, first 2 shown]
	v_add_f32_e32 v6, v8, v6
	v_fma_f32 v8, 0x3dbcf732, v52, -v90
	v_fmac_f32_e32 v108, 0x3f3d2fb0, v50
	s_delay_alu instid0(VALU_DEP_3) | instskip(NEXT) | instid1(VALU_DEP_3)
	v_dual_fmac_f32 v87, 0xbf7ba420, v56 :: v_dual_add_f32 v6, v9, v6
	v_add_f32_e32 v1, v8, v1
	s_delay_alu instid0(VALU_DEP_3) | instskip(SKIP_4) | instid1(VALU_DEP_4)
	v_add_f32_e32 v0, v108, v0
	v_fma_f32 v8, 0xbf1a4643, v55, -v93
	v_fmac_f32_e32 v178, 0x3dbcf732, v58
	v_fma_f32 v9, 0x3ee437d1, v66, -v170
	v_fmac_f32_e32 v92, 0xbe8c1d8e, v61
	v_dual_add_f32 v1, v8, v1 :: v_dual_add_f32 v0, v107, v0
	s_delay_alu instid0(VALU_DEP_4) | instskip(SKIP_1) | instid1(VALU_DEP_1)
	v_add_f32_e32 v7, v178, v7
	v_fma_f32 v8, 0xbf7ba420, v57, -v91
	v_dual_add_f32 v0, v109, v0 :: v_dual_add_f32 v1, v8, v1
	v_fma_f32 v8, 0xbf59a7d5, v59, -v95
	v_fmac_f32_e32 v88, 0xbf59a7d5, v58
	s_delay_alu instid0(VALU_DEP_2) | instskip(SKIP_2) | instid1(VALU_DEP_3)
	v_dual_add_f32 v0, v87, v0 :: v_dual_add_f32 v1, v8, v1
	v_fma_f32 v8, 0xbe8c1d8e, v63, -v96
	v_fmac_f32_e32 v180, 0xbf7ba420, v62
	v_add_f32_e32 v0, v88, v0
	s_delay_alu instid0(VALU_DEP_3) | instskip(SKIP_2) | instid1(VALU_DEP_2)
	v_add_f32_e32 v1, v8, v1
	v_fmac_f32_e32 v184, 0x3f3d2fb0, v61
	v_mul_lo_u16 v8, v137, 17
	v_dual_add_f32 v10, v10, v1 :: v_dual_add_f32 v7, v184, v7
	s_delay_alu instid0(VALU_DEP_2) | instskip(SKIP_1) | instid1(VALU_DEP_3)
	v_dual_add_f32 v1, v9, v6 :: v_dual_and_b32 v8, 0xffff, v8
	v_add_f32_e32 v0, v92, v0
	v_add_f32_e32 v7, v180, v7
	s_delay_alu instid0(VALU_DEP_3) | instskip(NEXT) | instid1(VALU_DEP_3)
	v_add_lshl_u32 v8, v136, v8, 3
	v_add_f32_e32 v12, v94, v0
	s_delay_alu instid0(VALU_DEP_3) | instskip(NEXT) | instid1(VALU_DEP_2)
	v_dual_add_f32 v0, v172, v7 :: v_dual_add_f32 v7, v11, v10
	v_add_f32_e32 v6, v101, v12
	ds_store_2addr_b64 v8, v[4:5], v[15:16] offset1:1
	ds_store_2addr_b64 v8, v[85:86], v[83:84] offset0:2 offset1:3
	ds_store_2addr_b64 v8, v[103:104], v[141:142] offset0:4 offset1:5
	;; [unrolled: 1-line block ×7, first 2 shown]
	ds_store_b64 v8, v[2:3] offset:128
.LBB0_7:
	s_wait_alu 0xfffe
	s_or_b32 exec_lo, exec_lo, s0
	v_and_b32_e32 v0, 0xff, v137
	v_add_nc_u16 v4, v137, 0x44
	v_add_nc_u16 v55, v137, 0x88
	s_load_b128 s[0:3], s[2:3], 0x0
	global_wb scope:SCOPE_SE
	s_wait_dscnt 0x0
	v_mul_lo_u16 v0, 0xf1, v0
	s_wait_kmcnt 0x0
	s_barrier_signal -1
	s_barrier_wait -1
	global_inv scope:SCOPE_SE
	v_add_lshl_u32 v140, v136, v137, 3
	v_lshrrev_b16 v56, 12, v0
	v_and_b32_e32 v0, 0xff, v4
	v_mad_co_u64_u32 v[53:54], null, v137, 24, s[4:5]
	v_lshl_add_u32 v148, v137, 3, v139
	s_delay_alu instid0(VALU_DEP_4) | instskip(NEXT) | instid1(VALU_DEP_4)
	v_mul_lo_u16 v1, v56, 17
	v_mul_lo_u16 v0, 0xf1, v0
	v_lshlrev_b32_e32 v141, 3, v137
	s_delay_alu instid0(VALU_DEP_4) | instskip(NEXT) | instid1(VALU_DEP_4)
	v_add_nc_u32_e32 v118, 0x1000, v148
	v_sub_nc_u16 v1, v137, v1
	s_delay_alu instid0(VALU_DEP_4) | instskip(SKIP_1) | instid1(VALU_DEP_3)
	v_lshrrev_b16 v59, 12, v0
	v_add_nc_u32_e32 v150, 0x1800, v148
	v_and_b32_e32 v70, 0xff, v1
	s_delay_alu instid0(VALU_DEP_1)
	v_mad_co_u64_u32 v[0:1], null, v70, 24, s[4:5]
	s_clause 0x1
	global_load_b128 v[12:15], v[0:1], off
	global_load_b64 v[67:68], v[0:1], off offset:16
	v_and_b32_e32 v33, 0xff, v55
	v_add_nc_u32_e32 v57, 0xcc, v137
	s_delay_alu instid0(VALU_DEP_2) | instskip(NEXT) | instid1(VALU_DEP_2)
	v_mul_lo_u16 v6, 0xf1, v33
	v_and_b32_e32 v5, 0xffff, v57
	s_delay_alu instid0(VALU_DEP_2) | instskip(NEXT) | instid1(VALU_DEP_2)
	v_lshrrev_b16 v69, 12, v6
	v_mul_u32_u24_e32 v58, 0xf0f1, v5
	v_mul_lo_u16 v5, v59, 17
	s_delay_alu instid0(VALU_DEP_3) | instskip(NEXT) | instid1(VALU_DEP_3)
	v_mul_lo_u16 v6, v69, 17
	v_lshrrev_b32_e32 v71, 20, v58
	s_delay_alu instid0(VALU_DEP_3) | instskip(SKIP_1) | instid1(VALU_DEP_4)
	v_sub_nc_u16 v4, v4, v5
	v_lshrrev_b32_e32 v58, 22, v58
	v_sub_nc_u16 v5, v55, v6
	s_delay_alu instid0(VALU_DEP_4) | instskip(NEXT) | instid1(VALU_DEP_4)
	v_mul_lo_u16 v7, v71, 17
	v_and_b32_e32 v73, 0xff, v4
	s_delay_alu instid0(VALU_DEP_4) | instskip(NEXT) | instid1(VALU_DEP_4)
	v_mul_lo_u16 v58, 0x44, v58
	v_and_b32_e32 v74, 0xff, v5
	s_delay_alu instid0(VALU_DEP_4) | instskip(NEXT) | instid1(VALU_DEP_4)
	v_sub_nc_u16 v72, v57, v7
	v_mad_co_u64_u32 v[0:1], null, v73, 24, s[4:5]
	s_delay_alu instid0(VALU_DEP_4) | instskip(NEXT) | instid1(VALU_DEP_4)
	v_sub_nc_u16 v57, v57, v58
	v_mad_co_u64_u32 v[4:5], null, v74, 24, s[4:5]
	s_delay_alu instid0(VALU_DEP_4)
	v_mul_lo_u16 v6, v72, 24
	s_clause 0x2
	global_load_b128 v[16:19], v[0:1], off
	global_load_b64 v[65:66], v[0:1], off offset:16
	global_load_b128 v[8:11], v[4:5], off
	v_and_b32_e32 v6, 0xffff, v6
	v_and_b32_e32 v56, 0xffff, v56
	v_add_nc_u32_e32 v32, 0x1000, v140
	v_mad_u16 v58, 0x44, v71, v72
	s_delay_alu instid0(VALU_DEP_4)
	v_add_co_u32 v0, s6, s4, v6
	s_wait_alu 0xf1ff
	v_add_co_ci_u32_e64 v1, null, s5, 0, s6
	s_clause 0x2
	global_load_b64 v[63:64], v[4:5], off offset:16
	global_load_b128 v[4:7], v[0:1], off
	global_load_b64 v[61:62], v[0:1], off offset:16
	v_add_nc_u32_e32 v0, 0x800, v140
	ds_load_2addr_b64 v[20:23], v140 offset1:68
	ds_load_2addr_b64 v[24:27], v140 offset0:136 offset1:204
	ds_load_2addr_b64 v[28:31], v0 offset0:16 offset1:84
	v_mul_u32_u24_e32 v56, 0x44, v56
	v_add_nc_u32_e32 v1, 0x1800, v140
	v_and_b32_e32 v59, 0xffff, v59
	s_delay_alu instid0(VALU_DEP_3) | instskip(SKIP_1) | instid1(VALU_DEP_3)
	v_add_nc_u32_e32 v56, v56, v70
	v_mul_lo_u16 v70, v57, 24
	v_mul_u32_u24_e32 v59, 0x44, v59
	s_delay_alu instid0(VALU_DEP_3)
	v_add_lshl_u32 v146, v136, v56, 3
	s_wait_loadcnt_dscnt 0x700
	v_mul_f32_e32 v56, v29, v13
	v_mul_lo_u16 v49, 0x79, v33
	ds_load_2addr_b64 v[33:36], v32 offset0:32 offset1:100
	ds_load_2addr_b64 v[37:40], v1 offset0:48 offset1:116
	;; [unrolled: 1-line block ×4, first 2 shown]
	v_and_b32_e32 v69, 0xffff, v69
	v_lshrrev_b16 v75, 13, v49
	s_delay_alu instid0(VALU_DEP_1) | instskip(NEXT) | instid1(VALU_DEP_1)
	v_mul_lo_u16 v75, 0x44, v75
	v_sub_nc_u16 v55, v55, v75
	s_wait_loadcnt_dscnt 0x602
	v_mul_f32_e32 v72, v37, v68
	v_mul_f32_e32 v71, v38, v68
	s_delay_alu instid0(VALU_DEP_3) | instskip(NEXT) | instid1(VALU_DEP_3)
	v_and_b32_e32 v55, 0xff, v55
	v_fmac_f32_e32 v72, v38, v67
	ds_load_2addr_b64 v[49:52], v1 offset0:184 offset1:252
	v_and_b32_e32 v58, 0xffff, v58
	global_wb scope:SCOPE_SE
	s_wait_loadcnt_dscnt 0x0
	s_barrier_signal -1
	s_barrier_wait -1
	global_inv scope:SCOPE_SE
	v_mul_f32_e32 v38, v36, v19
	v_mul_u32_u24_e32 v69, 0x44, v69
	v_mul_f32_e32 v76, v45, v11
	v_mul_f32_e32 v75, v46, v11
	s_delay_alu instid0(VALU_DEP_3)
	v_add_nc_u32_e32 v69, v69, v74
	v_mul_f32_e32 v74, v41, v9
	v_add_lshl_u32 v147, v136, v55, 3
	v_mul_f32_e32 v77, v50, v64
	v_add_lshl_u32 v142, v136, v58, 3
	v_mul_f32_e32 v58, v28, v13
	v_add_nc_u32_e32 v59, v59, v73
	v_fma_f32 v28, v28, v12, -v56
	v_mul_f32_e32 v56, v35, v19
	v_add_lshl_u32 v143, v136, v69, 3
	v_mul_f32_e32 v69, v33, v15
	v_add_lshl_u32 v145, v136, v59, 3
	v_dual_mul_f32 v59, v34, v15 :: v_dual_fmac_f32 v58, v29, v12
	v_mul_f32_e32 v73, v42, v9
	s_delay_alu instid0(VALU_DEP_4) | instskip(NEXT) | instid1(VALU_DEP_3)
	v_dual_fmac_f32 v69, v34, v14 :: v_dual_mul_f32 v34, v31, v17
	v_fma_f32 v29, v33, v14, -v59
	v_fma_f32 v33, v37, v67, -v71
	v_mul_f32_e32 v37, v30, v17
	v_mul_f32_e32 v59, v40, v66
	;; [unrolled: 1-line block ×3, first 2 shown]
	v_dual_mul_f32 v80, v43, v5 :: v_dual_mul_f32 v81, v48, v7
	v_dual_mul_f32 v82, v47, v7 :: v_dual_mul_f32 v83, v52, v62
	s_delay_alu instid0(VALU_DEP_3)
	v_dual_mul_f32 v84, v51, v62 :: v_dual_fmac_f32 v71, v40, v65
	v_fma_f32 v34, v30, v16, -v34
	v_dual_fmac_f32 v37, v31, v16 :: v_dual_fmac_f32 v56, v36, v18
	v_fma_f32 v30, v35, v18, -v38
	v_fma_f32 v31, v39, v65, -v59
	v_dual_fmac_f32 v74, v42, v8 :: v_dual_sub_f32 v39, v20, v29
	v_dual_fmac_f32 v76, v46, v10 :: v_dual_sub_f32 v29, v28, v33
	v_dual_sub_f32 v40, v21, v69 :: v_dual_sub_f32 v33, v58, v72
	v_dual_mul_f32 v78, v49, v64 :: v_dual_mul_f32 v79, v44, v5
	v_fma_f32 v35, v41, v8, -v73
	v_fma_f32 v36, v45, v10, -v75
	;; [unrolled: 1-line block ×3, first 2 shown]
	v_fmac_f32_e32 v80, v44, v4
	v_fma_f32 v42, v47, v6, -v81
	v_sub_f32_e32 v47, v22, v30
	v_fmac_f32_e32 v82, v48, v6
	v_fma_f32 v44, v20, 2.0, -v39
	v_fma_f32 v45, v21, 2.0, -v40
	;; [unrolled: 1-line block ×3, first 2 shown]
	v_dual_sub_f32 v20, v39, v33 :: v_dual_sub_f32 v33, v34, v31
	v_dual_fmac_f32 v78, v50, v63 :: v_dual_add_f32 v21, v40, v29
	v_fma_f32 v41, v43, v4, -v79
	v_fma_f32 v43, v51, v61, -v83
	v_dual_fmac_f32 v84, v52, v61 :: v_dual_sub_f32 v49, v37, v71
	v_fma_f32 v28, v28, 2.0, -v29
	v_dual_sub_f32 v48, v23, v56 :: v_dual_sub_f32 v29, v45, v46
	v_sub_f32_e32 v51, v25, v76
	v_fma_f32 v30, v39, 2.0, -v20
	v_fma_f32 v46, v22, 2.0, -v47
	;; [unrolled: 1-line block ×3, first 2 shown]
	v_sub_f32_e32 v50, v24, v36
	v_sub_f32_e32 v36, v35, v38
	;; [unrolled: 1-line block ×4, first 2 shown]
	v_dual_sub_f32 v42, v41, v43 :: v_dual_sub_f32 v43, v80, v84
	v_fma_f32 v31, v40, 2.0, -v21
	v_fma_f32 v37, v37, 2.0, -v49
	v_sub_f32_e32 v22, v47, v49
	v_fma_f32 v40, v35, 2.0, -v36
	v_sub_f32_e32 v35, v46, v39
	;; [unrolled: 2-line block ×3, first 2 shown]
	v_sub_f32_e32 v28, v44, v28
	v_fma_f32 v58, v23, 2.0, -v48
	v_add_f32_e32 v23, v48, v33
	v_fma_f32 v69, v74, 2.0, -v38
	v_fma_f32 v74, v80, 2.0, -v43
	v_sub_f32_e32 v39, v49, v40
	v_fma_f32 v72, v27, 2.0, -v56
	v_fma_f32 v59, v25, 2.0, -v51
	v_add_f32_e32 v25, v51, v36
	v_fma_f32 v71, v26, 2.0, -v52
	ds_store_2addr_b64 v146, v[28:29], v[20:21] offset0:34 offset1:51
	v_sub_f32_e32 v21, v72, v74
	v_fma_f32 v73, v41, 2.0, -v42
	v_sub_f32_e32 v36, v58, v37
	v_sub_f32_e32 v40, v59, v69
	;; [unrolled: 1-line block ×4, first 2 shown]
	v_add_f32_e32 v27, v56, v42
	v_fma_f32 v33, v44, 2.0, -v28
	v_fma_f32 v34, v45, 2.0, -v29
	v_sub_f32_e32 v20, v71, v73
	v_fma_f32 v37, v47, 2.0, -v22
	v_fma_f32 v38, v48, 2.0, -v23
	;; [unrolled: 1-line block ×4, first 2 shown]
	v_add_nc_u32_e32 v59, 0x1000, v147
	v_fma_f32 v44, v58, 2.0, -v36
	v_fma_f32 v41, v50, 2.0, -v24
	;; [unrolled: 1-line block ×6, first 2 shown]
	ds_store_2addr_b64 v146, v[33:34], v[30:31] offset1:17
	ds_store_2addr_b64 v145, v[35:36], v[22:23] offset0:34 offset1:51
	v_fma_f32 v22, v71, 2.0, -v20
	v_fma_f32 v23, v72, 2.0, -v21
	ds_store_2addr_b64 v145, v[43:44], v[37:38] offset1:17
	ds_store_2addr_b64 v143, v[45:46], v[41:42] offset1:17
	ds_store_2addr_b64 v143, v[39:40], v[24:25] offset0:34 offset1:51
	ds_store_2addr_b64 v142, v[20:21], v[26:27] offset0:34 offset1:51
	ds_store_2addr_b64 v142, v[22:23], v[28:29] offset1:17
	v_mad_co_u64_u32 v[20:21], null, v55, 24, s[4:5]
	global_wb scope:SCOPE_SE
	s_wait_dscnt 0x0
	s_barrier_signal -1
	s_barrier_wait -1
	global_inv scope:SCOPE_SE
	s_clause 0x2
	global_load_b128 v[28:31], v[53:54], off offset:408
	global_load_b64 v[73:74], v[53:54], off offset:424
	global_load_b128 v[24:27], v[20:21], off offset:408
	v_and_b32_e32 v22, 0xffff, v70
	v_and_b32_e32 v45, 0xffff, v57
	s_delay_alu instid0(VALU_DEP_2)
	v_add_co_u32 v33, s6, s4, v22
	s_wait_alu 0xf1ff
	v_add_co_ci_u32_e64 v34, null, s5, 0, s6
	s_clause 0x2
	global_load_b64 v[71:72], v[20:21], off offset:424
	global_load_b128 v[20:23], v[33:34], off offset:408
	global_load_b64 v[69:70], v[33:34], off offset:424
	ds_load_2addr_b64 v[33:36], v0 offset0:16 offset1:84
	ds_load_2addr_b64 v[37:40], v32 offset0:32 offset1:100
	;; [unrolled: 1-line block ×3, first 2 shown]
	v_add_lshl_u32 v144, v136, v45, 3
	ds_load_2addr_b64 v[45:48], v140 offset1:68
	ds_load_2addr_b64 v[49:52], v0 offset0:152 offset1:220
	ds_load_2addr_b64 v[53:56], v140 offset0:136 offset1:204
	;; [unrolled: 1-line block ×4, first 2 shown]
	global_wb scope:SCOPE_SE
	s_wait_loadcnt_dscnt 0x0
	s_barrier_signal -1
	s_barrier_wait -1
	v_add_nc_u32_e32 v83, 0x1800, v144
	global_inv scope:SCOPE_SE
	v_mul_f32_e32 v57, v34, v29
	v_dual_mul_f32 v58, v33, v29 :: v_dual_mul_f32 v91, v39, v31
	v_dual_mul_f32 v84, v38, v31 :: v_dual_mul_f32 v89, v35, v29
	;; [unrolled: 1-line block ×3, first 2 shown]
	v_mul_f32_e32 v95, v49, v25
	v_dual_mul_f32 v87, v41, v74 :: v_dual_mul_f32 v88, v36, v29
	v_dual_mul_f32 v93, v43, v74 :: v_dual_mul_f32 v90, v40, v31
	;; [unrolled: 1-line block ×3, first 2 shown]
	v_mul_f32_e32 v97, v75, v27
	v_dual_mul_f32 v102, v78, v23 :: v_dual_fmac_f32 v89, v36, v28
	v_dual_mul_f32 v94, v50, v25 :: v_dual_mul_f32 v103, v77, v23
	v_dual_mul_f32 v96, v76, v27 :: v_dual_mul_f32 v101, v51, v21
	;; [unrolled: 1-line block ×3, first 2 shown]
	v_dual_mul_f32 v100, v52, v21 :: v_dual_fmac_f32 v85, v38, v30
	v_dual_mul_f32 v104, v82, v70 :: v_dual_fmac_f32 v93, v44, v73
	v_fma_f32 v33, v33, v28, -v57
	v_dual_fmac_f32 v58, v34, v28 :: v_dual_fmac_f32 v91, v40, v30
	v_fma_f32 v34, v37, v30, -v84
	v_fma_f32 v37, v41, v73, -v86
	v_fmac_f32_e32 v87, v42, v73
	v_fma_f32 v35, v35, v28, -v88
	v_fma_f32 v36, v39, v30, -v90
	;; [unrolled: 1-line block ×5, first 2 shown]
	v_fmac_f32_e32 v95, v50, v24
	v_fma_f32 v40, v75, v26, -v96
	v_dual_fmac_f32 v97, v76, v26 :: v_dual_sub_f32 v50, v46, v85
	v_fma_f32 v41, v79, v71, -v98
	v_fmac_f32_e32 v99, v80, v71
	v_fma_f32 v42, v51, v20, -v100
	v_fmac_f32_e32 v101, v52, v20
	v_fmac_f32_e32 v103, v78, v22
	v_fma_f32 v44, v81, v69, -v104
	v_dual_fmac_f32 v105, v82, v69 :: v_dual_sub_f32 v76, v55, v43
	v_dual_sub_f32 v51, v47, v36 :: v_dual_sub_f32 v52, v48, v91
	v_sub_f32_e32 v36, v35, v38
	v_sub_f32_e32 v49, v45, v34
	;; [unrolled: 1-line block ×3, first 2 shown]
	v_dual_sub_f32 v38, v89, v93 :: v_dual_sub_f32 v37, v58, v87
	v_dual_sub_f32 v43, v42, v44 :: v_dual_sub_f32 v44, v101, v105
	v_fma_f32 v79, v46, 2.0, -v50
	v_fma_f32 v81, v48, 2.0, -v52
	s_delay_alu instid0(VALU_DEP_4)
	v_fma_f32 v46, v58, 2.0, -v37
	v_dual_sub_f32 v57, v53, v40 :: v_dual_sub_f32 v40, v39, v41
	v_sub_f32_e32 v77, v56, v103
	v_sub_f32_e32 v75, v54, v97
	v_fma_f32 v48, v89, 2.0, -v38
	v_sub_f32_e32 v41, v95, v99
	v_fma_f32 v80, v47, 2.0, -v51
	v_fma_f32 v47, v35, 2.0, -v36
	v_add_f32_e32 v36, v52, v36
	v_fma_f32 v78, v45, 2.0, -v49
	v_fma_f32 v45, v33, 2.0, -v34
	v_add_f32_e32 v34, v50, v34
	v_sub_f32_e32 v35, v51, v38
	v_add_f32_e32 v38, v75, v40
	v_fma_f32 v85, v55, 2.0, -v76
	v_fma_f32 v86, v56, 2.0, -v77
	;; [unrolled: 1-line block ×4, first 2 shown]
	v_dual_sub_f32 v33, v49, v37 :: v_dual_sub_f32 v42, v79, v46
	v_fma_f32 v82, v53, 2.0, -v57
	v_fma_f32 v53, v39, 2.0, -v40
	v_add_f32_e32 v40, v77, v43
	v_fma_f32 v84, v54, 2.0, -v75
	v_sub_f32_e32 v46, v81, v48
	v_fma_f32 v54, v95, 2.0, -v41
	v_sub_f32_e32 v37, v57, v41
	v_sub_f32_e32 v41, v78, v45
	;; [unrolled: 1-line block ×4, first 2 shown]
	v_fma_f32 v44, v50, 2.0, -v34
	v_sub_f32_e32 v50, v84, v54
	v_sub_f32_e32 v54, v86, v56
	v_fma_f32 v43, v49, 2.0, -v33
	v_sub_f32_e32 v49, v82, v53
	v_sub_f32_e32 v53, v85, v55
	v_fma_f32 v47, v51, 2.0, -v35
	v_fma_f32 v51, v57, 2.0, -v37
	;; [unrolled: 1-line block ×14, first 2 shown]
	ds_store_2addr_b64 v140, v[41:42], v[33:34] offset0:136 offset1:204
	ds_store_2addr_b64 v0, v[45:46], v[35:36] offset0:152 offset1:220
	ds_store_2addr_b64 v140, v[57:58], v[43:44] offset1:68
	ds_store_2addr_b64 v0, v[75:76], v[47:48] offset0:16 offset1:84
	ds_store_2addr_b64 v59, v[77:78], v[51:52] offset0:32 offset1:100
	;; [unrolled: 1-line block ×5, first 2 shown]
	global_wb scope:SCOPE_SE
	s_wait_dscnt 0x0
	s_barrier_signal -1
	s_barrier_wait -1
	global_inv scope:SCOPE_SE
	s_clause 0x3
	global_load_b64 v[77:78], v141, s[4:5] offset:2040
	global_load_b64 v[81:82], v141, s[4:5] offset:2584
	;; [unrolled: 1-line block ×4, first 2 shown]
	ds_load_2addr_b64 v[33:36], v32 offset0:32 offset1:100
	ds_load_2addr_b64 v[37:40], v32 offset0:168 offset1:236
	;; [unrolled: 1-line block ×3, first 2 shown]
	ds_load_2addr_b64 v[45:48], v140 offset1:68
	ds_load_2addr_b64 v[49:52], v1 offset0:184 offset1:252
	ds_load_2addr_b64 v[53:56], v140 offset0:136 offset1:204
	;; [unrolled: 1-line block ×4, first 2 shown]
	global_wb scope:SCOPE_SE
	s_wait_loadcnt_dscnt 0x0
	s_barrier_signal -1
	s_barrier_wait -1
	global_inv scope:SCOPE_SE
	v_mul_f32_e32 v58, v33, v78
	v_mul_f32_e32 v59, v36, v82
	;; [unrolled: 1-line block ×4, first 2 shown]
	s_delay_alu instid0(VALU_DEP_4) | instskip(SKIP_1) | instid1(VALU_DEP_3)
	v_dual_mul_f32 v97, v41, v78 :: v_dual_fmac_f32 v58, v34, v77
	v_mul_f32_e32 v93, v37, v76
	v_dual_mul_f32 v92, v38, v76 :: v_dual_fmac_f32 v103, v52, v79
	v_mul_f32_e32 v96, v42, v78
	s_delay_alu instid0(VALU_DEP_3) | instskip(SKIP_2) | instid1(VALU_DEP_3)
	v_dual_mul_f32 v98, v44, v82 :: v_dual_fmac_f32 v93, v38, v75
	v_dual_mul_f32 v91, v35, v82 :: v_dual_mul_f32 v100, v50, v76
	v_dual_mul_f32 v102, v52, v80 :: v_dual_fmac_f32 v101, v50, v75
	v_dual_mul_f32 v99, v43, v82 :: v_dual_sub_f32 v38, v54, v93
	s_delay_alu instid0(VALU_DEP_3)
	v_dual_fmac_f32 v91, v36, v81 :: v_dual_sub_f32 v52, v90, v103
	v_dual_mul_f32 v57, v34, v78 :: v_dual_mul_f32 v94, v40, v80
	v_fmac_f32_e32 v97, v42, v77
	v_mul_f32_e32 v95, v39, v80
	v_fma_f32 v35, v35, v81, -v59
	v_fma_f32 v41, v41, v77, -v96
	;; [unrolled: 1-line block ×3, first 2 shown]
	v_sub_f32_e32 v42, v84, v97
	v_fma_f32 v49, v49, v75, -v100
	v_fma_f32 v51, v51, v79, -v102
	v_sub_f32_e32 v36, v48, v91
	v_fma_f32 v33, v33, v77, -v57
	v_sub_f32_e32 v50, v88, v101
	v_fmac_f32_e32 v99, v44, v81
	v_fma_f32 v37, v37, v75, -v92
	v_fma_f32 v39, v39, v79, -v94
	v_fmac_f32_e32 v95, v40, v79
	v_dual_sub_f32 v33, v45, v33 :: v_dual_sub_f32 v34, v46, v58
	v_sub_f32_e32 v35, v47, v35
	v_sub_f32_e32 v41, v83, v41
	v_sub_f32_e32 v43, v85, v43
	v_dual_sub_f32 v44, v86, v99 :: v_dual_sub_f32 v49, v87, v49
	v_sub_f32_e32 v51, v89, v51
	v_sub_f32_e32 v37, v53, v37
	;; [unrolled: 1-line block ×4, first 2 shown]
	v_fma_f32 v45, v45, 2.0, -v33
	v_fma_f32 v46, v46, 2.0, -v34
	;; [unrolled: 1-line block ×16, first 2 shown]
	ds_store_2addr_b64 v0, v[33:34], v[35:36] offset0:16 offset1:84
	ds_store_2addr_b64 v0, v[37:38], v[39:40] offset0:152 offset1:220
	;; [unrolled: 1-line block ×4, first 2 shown]
	ds_store_2addr_b64 v140, v[45:46], v[47:48] offset1:68
	ds_store_2addr_b64 v140, v[53:54], v[55:56] offset0:136 offset1:204
	ds_store_2addr_b64 v32, v[57:58], v[83:84] offset0:32 offset1:100
	;; [unrolled: 1-line block ×3, first 2 shown]
	global_wb scope:SCOPE_SE
	s_wait_dscnt 0x0
	s_barrier_signal -1
	s_barrier_wait -1
	global_inv scope:SCOPE_SE
	s_clause 0x7
	global_load_b64 v[97:98], v141, s[4:5] offset:4216
	global_load_b64 v[91:92], v141, s[4:5] offset:4760
	global_load_b64 v[95:96], v141, s[4:5] offset:5304
	global_load_b64 v[85:86], v141, s[4:5] offset:5848
	global_load_b64 v[87:88], v141, s[4:5] offset:6392
	global_load_b64 v[93:94], v141, s[4:5] offset:6936
	global_load_b64 v[83:84], v141, s[4:5] offset:7480
	global_load_b64 v[89:90], v141, s[4:5] offset:8024
	ds_load_2addr_b64 v[33:36], v32 offset0:32 offset1:100
	ds_load_2addr_b64 v[37:40], v32 offset0:168 offset1:236
	;; [unrolled: 1-line block ×4, first 2 shown]
	ds_load_2addr_b64 v[102:105], v140 offset1:68
	ds_load_2addr_b64 v[106:109], v140 offset0:136 offset1:204
	ds_load_2addr_b64 v[110:113], v0 offset0:16 offset1:84
	;; [unrolled: 1-line block ×3, first 2 shown]
	s_wait_loadcnt_dscnt 0x707
	v_mul_f32_e32 v0, v34, v98
	s_wait_loadcnt 0x6
	v_mul_f32_e32 v32, v36, v92
	s_wait_loadcnt_dscnt 0x506
	v_mul_f32_e32 v51, v37, v96
	v_mul_f32_e32 v50, v38, v96
	s_wait_loadcnt_dscnt 0x305
	v_dual_mul_f32 v53, v42, v88 :: v_dual_mul_f32 v52, v40, v86
	s_wait_loadcnt_dscnt 0x104
	v_dual_mul_f32 v57, v46, v84 :: v_dual_mul_f32 v54, v39, v86
	v_dual_mul_f32 v55, v41, v88 :: v_dual_mul_f32 v56, v44, v94
	;; [unrolled: 1-line block ×3, first 2 shown]
	s_wait_loadcnt 0x0
	v_mul_f32_e32 v99, v48, v90
	v_mul_f32_e32 v100, v47, v90
	v_fma_f32 v32, v35, v91, -v32
	v_fmac_f32_e32 v51, v38, v95
	v_fma_f32 v38, v45, v83, -v57
	v_mul_f32_e32 v49, v35, v92
	v_fma_f32 v35, v41, v87, -v53
	v_mul_f32_e32 v1, v33, v98
	v_fma_f32 v0, v33, v97, -v0
	v_fma_f32 v33, v37, v95, -v50
	v_fmac_f32_e32 v54, v40, v85
	s_wait_dscnt 0x1
	v_sub_f32_e32 v40, v110, v35
	v_fmac_f32_e32 v1, v34, v97
	v_fma_f32 v34, v39, v85, -v52
	v_dual_fmac_f32 v55, v42, v87 :: v_dual_fmac_f32 v58, v44, v93
	v_fmac_f32_e32 v59, v46, v83
	v_fma_f32 v39, v47, v89, -v99
	v_fmac_f32_e32 v100, v48, v89
	v_sub_f32_e32 v52, v104, v32
	s_wait_dscnt 0x0
	v_dual_sub_f32 v32, v114, v38 :: v_dual_fmac_f32 v49, v36, v91
	v_fma_f32 v36, v43, v93, -v56
	v_dual_sub_f32 v48, v106, v33 :: v_dual_add_nc_u32 v149, 0x800, v148
	v_dual_sub_f32 v44, v108, v34 :: v_dual_add_nc_u32 v101, v141, v139
	s_delay_alu instid0(VALU_DEP_4)
	v_dual_sub_f32 v56, v102, v0 :: v_dual_sub_f32 v53, v105, v49
	v_sub_f32_e32 v49, v107, v51
	v_sub_f32_e32 v45, v109, v54
	v_dual_sub_f32 v41, v111, v55 :: v_dual_sub_f32 v36, v112, v36
	v_sub_f32_e32 v57, v103, v1
	v_sub_f32_e32 v37, v113, v58
	;; [unrolled: 1-line block ×3, first 2 shown]
	v_dual_sub_f32 v0, v116, v39 :: v_dual_sub_f32 v1, v117, v100
	v_fma_f32 v99, v102, 2.0, -v56
	v_fma_f32 v100, v103, 2.0, -v57
	;; [unrolled: 1-line block ×16, first 2 shown]
	ds_store_2addr_b64 v118, v[56:57], v[52:53] offset0:32 offset1:100
	ds_store_2addr_b64 v118, v[48:49], v[44:45] offset0:168 offset1:236
	;; [unrolled: 1-line block ×3, first 2 shown]
	ds_store_2addr_b64 v148, v[99:100], v[58:59] offset1:68
	ds_store_2addr_b64 v148, v[54:55], v[50:51] offset0:136 offset1:204
	ds_store_2addr_b64 v149, v[46:47], v[42:43] offset0:16 offset1:84
	ds_store_b64 v148, v[38:39] offset:3264
	ds_store_b64 v101, v[32:33] offset:7616
	;; [unrolled: 1-line block ×4, first 2 shown]
	global_wb scope:SCOPE_SE
	s_wait_dscnt 0x0
	s_barrier_signal -1
	s_barrier_wait -1
	global_inv scope:SCOPE_SE
	s_and_saveexec_b32 s6, vcc_lo
	s_cbranch_execz .LBB0_9
; %bb.8:
	global_load_b64 v[102:103], v120, s[8:9] offset:8704
	s_add_nc_u64 s[4:5], s[8:9], 0x2200
	s_clause 0xf
	global_load_b64 v[165:166], v120, s[4:5] offset:512
	global_load_b64 v[167:168], v120, s[4:5] offset:1024
	;; [unrolled: 1-line block ×16, first 2 shown]
	ds_load_b64 v[104:105], v138
	s_wait_loadcnt_dscnt 0x1000
	v_mul_f32_e32 v106, v105, v103
	v_mul_f32_e32 v107, v104, v103
	s_delay_alu instid0(VALU_DEP_2) | instskip(NEXT) | instid1(VALU_DEP_2)
	v_fma_f32 v106, v104, v102, -v106
	v_fmac_f32_e32 v107, v105, v102
	ds_store_b64 v138, v[106:107]
	ds_load_2addr_stride64_b64 v[102:105], v148 offset0:1 offset1:2
	ds_load_2addr_stride64_b64 v[106:109], v148 offset0:3 offset1:4
	;; [unrolled: 1-line block ×8, first 2 shown]
	s_wait_loadcnt_dscnt 0xf07
	v_mul_f32_e32 v198, v103, v166
	s_wait_loadcnt 0xe
	v_dual_mul_f32 v197, v102, v166 :: v_dual_mul_f32 v166, v104, v168
	s_wait_loadcnt_dscnt 0xd06
	v_dual_mul_f32 v199, v105, v168 :: v_dual_mul_f32 v200, v107, v170
	s_wait_loadcnt 0xc
	v_dual_mul_f32 v168, v106, v170 :: v_dual_mul_f32 v201, v109, v172
	v_dual_mul_f32 v170, v108, v172 :: v_dual_fmac_f32 v197, v103, v165
	s_wait_loadcnt_dscnt 0xa05
	v_dual_mul_f32 v202, v111, v174 :: v_dual_mul_f32 v203, v113, v176
	s_wait_loadcnt_dscnt 0x804
	v_dual_mul_f32 v172, v110, v174 :: v_dual_mul_f32 v205, v117, v180
	v_mul_f32_e32 v174, v112, v176
	s_wait_loadcnt_dscnt 0x603
	v_dual_mul_f32 v204, v115, v178 :: v_dual_mul_f32 v207, v152, v184
	s_wait_loadcnt_dscnt 0x402
	v_dual_mul_f32 v176, v114, v178 :: v_dual_mul_f32 v209, v156, v188
	v_mul_f32_e32 v178, v116, v180
	s_wait_loadcnt_dscnt 0x201
	v_dual_mul_f32 v206, v150, v182 :: v_dual_mul_f32 v211, v160, v192
	v_mul_f32_e32 v118, v149, v182
	v_mul_f32_e32 v180, v151, v184
	;; [unrolled: 1-line block ×8, first 2 shown]
	s_wait_loadcnt_dscnt 0x100
	v_mul_f32_e32 v212, v162, v194
	v_mul_f32_e32 v190, v161, v194
	s_wait_loadcnt 0x0
	v_mul_f32_e32 v194, v164, v196
	v_mul_f32_e32 v192, v163, v196
	v_fma_f32 v196, v102, v165, -v198
	v_fma_f32 v165, v104, v167, -v199
	v_fmac_f32_e32 v166, v105, v167
	v_fma_f32 v167, v106, v169, -v200
	v_fmac_f32_e32 v168, v107, v169
	;; [unrolled: 2-line block ×15, first 2 shown]
	ds_store_2addr_stride64_b64 v148, v[196:197], v[165:166] offset0:1 offset1:2
	ds_store_2addr_stride64_b64 v148, v[167:168], v[169:170] offset0:3 offset1:4
	;; [unrolled: 1-line block ×8, first 2 shown]
.LBB0_9:
	s_wait_alu 0xfffe
	s_or_b32 exec_lo, exec_lo, s6
	global_wb scope:SCOPE_SE
	s_wait_dscnt 0x0
	s_barrier_signal -1
	s_barrier_wait -1
	global_inv scope:SCOPE_SE
	s_and_saveexec_b32 s4, vcc_lo
	s_cbranch_execz .LBB0_11
; %bb.10:
	ds_load_b64 v[99:100], v138
	ds_load_2addr_stride64_b64 v[56:59], v148 offset0:1 offset1:2
	ds_load_2addr_stride64_b64 v[52:55], v148 offset0:3 offset1:4
	;; [unrolled: 1-line block ×8, first 2 shown]
.LBB0_11:
	s_wait_alu 0xfffe
	s_or_b32 exec_lo, exec_lo, s4
	v_add_nc_u32_e32 v150, 0xcc0, v101
	v_add_nc_u32_e32 v149, 0xee0, v101
	global_wb scope:SCOPE_SE
	s_wait_dscnt 0x0
	s_barrier_signal -1
	s_barrier_wait -1
	global_inv scope:SCOPE_SE
	s_and_saveexec_b32 s4, vcc_lo
	s_cbranch_execz .LBB0_13
; %bb.12:
	v_dual_sub_f32 v157, v56, v2 :: v_dual_add_f32 v182, v3, v57
	v_dual_sub_f32 v154, v58, v0 :: v_dual_add_f32 v181, v1, v59
	v_dual_sub_f32 v152, v52, v34 :: v_dual_sub_f32 v153, v54, v32
	s_delay_alu instid0(VALU_DEP_3) | instskip(NEXT) | instid1(VALU_DEP_2)
	v_dual_mul_f32 v188, 0xbf65296c, v157 :: v_dual_add_f32 v177, v33, v55
	v_dual_add_f32 v180, v35, v53 :: v_dual_mul_f32 v191, 0x3e3c28d5, v152
	s_delay_alu instid0(VALU_DEP_2) | instskip(SKIP_3) | instid1(VALU_DEP_3)
	v_dual_add_f32 v160, v0, v58 :: v_dual_fmamk_f32 v101, v182, 0x3ee437d1, v188
	v_mul_f32_e32 v190, 0xbf4c4adb, v154
	v_dual_sub_f32 v155, v48, v38 :: v_dual_add_f32 v178, v39, v49
	v_dual_mul_f32 v193, 0x3f763a35, v153 :: v_dual_add_f32 v162, v32, v54
	v_dual_add_f32 v101, v100, v101 :: v_dual_fmamk_f32 v102, v181, 0xbf1a4643, v190
	v_sub_f32_e32 v151, v44, v42
	v_dual_fmamk_f32 v103, v180, 0xbf7ba420, v191 :: v_dual_add_f32 v170, v43, v45
	v_dual_sub_f32 v156, v50, v36 :: v_dual_add_f32 v179, v37, v51
	s_delay_alu instid0(VALU_DEP_4) | instskip(SKIP_1) | instid1(VALU_DEP_3)
	v_dual_add_f32 v101, v102, v101 :: v_dual_mul_f32 v194, 0x3f2c7751, v155
	v_fmamk_f32 v102, v177, 0xbe8c1d8e, v193
	v_dual_sub_f32 v169, v57, v3 :: v_dual_mul_f32 v184, 0xbeb8f4ab, v156
	s_delay_alu instid0(VALU_DEP_3) | instskip(NEXT) | instid1(VALU_DEP_4)
	v_add_f32_e32 v101, v103, v101
	v_dual_fmamk_f32 v103, v178, 0x3f3d2fb0, v194 :: v_dual_sub_f32 v168, v55, v33
	v_dual_sub_f32 v167, v53, v35 :: v_dual_add_f32 v164, v36, v50
	s_delay_alu instid0(VALU_DEP_3)
	v_add_f32_e32 v101, v102, v101
	v_dual_add_f32 v159, v2, v56 :: v_dual_fmamk_f32 v102, v179, 0x3f6eb680, v184
	v_dual_mul_f32 v197, 0xbf65296c, v169 :: v_dual_sub_f32 v158, v46, v40
	v_dual_mul_f32 v183, 0xbf7ee86f, v151 :: v_dual_sub_f32 v172, v51, v37
	v_dual_sub_f32 v173, v59, v1 :: v_dual_mul_f32 v186, 0x3e3c28d5, v167
	v_add_f32_e32 v101, v103, v101
	s_delay_alu instid0(VALU_DEP_4) | instskip(SKIP_2) | instid1(VALU_DEP_4)
	v_fma_f32 v104, 0x3ee437d1, v159, -v197
	v_dual_sub_f32 v171, v49, v39 :: v_dual_sub_f32 v176, v47, v41
	v_mul_f32_e32 v187, 0xbf06c442, v158
	v_dual_add_f32 v101, v102, v101 :: v_dual_sub_f32 v174, v45, v43
	v_fmamk_f32 v102, v170, 0x3dbcf732, v183
	v_mul_f32_e32 v185, 0xbf4c4adb, v173
	v_dual_add_f32 v103, v99, v104 :: v_dual_mul_f32 v192, 0x3f2c7751, v171
	v_dual_add_f32 v175, v41, v47 :: v_dual_add_f32 v166, v40, v46
	s_delay_alu instid0(VALU_DEP_3) | instskip(SKIP_3) | instid1(VALU_DEP_4)
	v_fma_f32 v104, 0xbf1a4643, v160, -v185
	v_mul_f32_e32 v196, 0xbf06c442, v176
	v_add_f32_e32 v161, v34, v52
	v_dual_add_f32 v101, v102, v101 :: v_dual_mul_f32 v198, 0xbf7ee86f, v174
	v_dual_add_f32 v103, v104, v103 :: v_dual_mul_f32 v118, 0xbf7ee86f, v157
	s_delay_alu instid0(VALU_DEP_3) | instskip(SKIP_3) | instid1(VALU_DEP_4)
	v_fma_f32 v104, 0xbf7ba420, v161, -v186
	v_dual_add_f32 v163, v38, v48 :: v_dual_mul_f32 v208, 0xbe3c28d5, v154
	v_mul_f32_e32 v195, 0xbeb8f4ab, v172
	v_dual_add_f32 v165, v42, v44 :: v_dual_mul_f32 v210, 0xbf65296c, v155
	v_add_f32_e32 v102, v104, v103
	v_fmamk_f32 v104, v175, 0xbf59a7d5, v187
	v_mul_f32_e32 v189, 0x3f763a35, v168
	v_fma_f32 v105, 0x3f6eb680, v164, -v195
	v_mul_f32_e32 v212, 0xbe3c28d5, v173
	v_mul_f32_e32 v211, 0xbf7ee86f, v169
	;; [unrolled: 1-line block ×3, first 2 shown]
	v_fma_f32 v103, 0xbe8c1d8e, v162, -v189
	v_mul_f32_e32 v213, 0x3f2c7751, v152
	v_fma_f32 v106, 0xbf7ba420, v160, -v212
	v_mul_f32_e32 v203, 0x3eb8f4ab, v168
	v_mul_f32_e32 v202, 0x3f4c4adb, v151
	v_add_f32_e32 v102, v103, v102
	v_fma_f32 v103, 0x3f3d2fb0, v163, -v192
	v_fmamk_f32 v108, v180, 0x3f3d2fb0, v213
	v_mul_f32_e32 v117, 0x3f763a35, v152
	v_mul_f32_e32 v206, 0xbf65296c, v171
	;; [unrolled: 1-line block ×3, first 2 shown]
	v_dual_add_f32 v103, v103, v102 :: v_dual_add_f32 v102, v104, v101
	v_fma_f32 v104, 0x3dbcf732, v165, -v198
	v_mul_f32_e32 v200, 0xbf06c442, v156
	s_delay_alu instid0(VALU_DEP_3) | instskip(SKIP_2) | instid1(VALU_DEP_3)
	v_dual_mul_f32 v228, 0x3f65296c, v173 :: v_dual_add_f32 v101, v105, v103
	v_fmamk_f32 v103, v182, 0x3dbcf732, v118
	v_dual_mul_f32 v205, 0x3f2c7751, v158 :: v_dual_mul_f32 v218, 0x3f2c7751, v167
	v_fma_f32 v110, 0x3ee437d1, v160, -v228
	s_delay_alu instid0(VALU_DEP_4) | instskip(SKIP_4) | instid1(VALU_DEP_4)
	v_add_f32_e32 v101, v104, v101
	v_fma_f32 v104, 0xbf59a7d5, v166, -v196
	v_add_f32_e32 v103, v100, v103
	v_dual_mul_f32 v207, 0xbf06c442, v172 :: v_dual_mul_f32 v114, 0xbf06c442, v169
	v_mul_f32_e32 v115, 0xbf763a35, v157
	v_add_f32_e32 v101, v104, v101
	v_fma_f32 v104, 0x3dbcf732, v159, -v211
	s_delay_alu instid0(VALU_DEP_4) | instskip(SKIP_1) | instid1(VALU_DEP_3)
	v_fma_f32 v107, 0xbf59a7d5, v164, -v207
	v_dual_mul_f32 v217, 0xbe3c28d5, v155 :: v_dual_mul_f32 v236, 0xbe3c28d5, v172
	v_dual_mul_f32 v215, 0xbf65296c, v153 :: v_dual_add_f32 v104, v99, v104
	v_fmamk_f32 v105, v181, 0xbf7ba420, v208
	v_mul_f32_e32 v204, 0x3f4c4adb, v174
	s_delay_alu instid0(VALU_DEP_4)
	v_fma_f32 v238, 0xbf7ba420, v164, -v236
	v_mul_f32_e32 v199, 0x3f2c7751, v176
	v_add_f32_e32 v104, v106, v104
	v_fma_f32 v106, 0xbe8c1d8e, v161, -v201
	v_mul_f32_e32 v116, 0x3f06c442, v154
	v_mul_f32_e32 v219, 0x3f7ee86f, v156
	;; [unrolled: 1-line block ×4, first 2 shown]
	v_add_f32_e32 v104, v106, v104
	v_fma_f32 v106, 0x3f6eb680, v162, -v203
	v_dual_add_f32 v103, v105, v103 :: v_dual_mul_f32 v214, 0xbf763a35, v169
	v_dual_mul_f32 v223, 0xbf4c4adb, v158 :: v_dual_mul_f32 v246, 0xbf4c4adb, v155
	s_delay_alu instid0(VALU_DEP_3) | instskip(SKIP_4) | instid1(VALU_DEP_4)
	v_add_f32_e32 v104, v106, v104
	v_fma_f32 v106, 0x3ee437d1, v163, -v206
	v_fmamk_f32 v105, v180, 0xbe8c1d8e, v117
	v_mul_f32_e32 v216, 0x3f06c442, v173
	v_mul_f32_e32 v220, 0xbf65296c, v168
	v_dual_mul_f32 v225, 0xbeb8f4ab, v174 :: v_dual_add_f32 v106, v106, v104
	s_delay_alu instid0(VALU_DEP_4)
	v_add_f32_e32 v103, v105, v103
	v_fmamk_f32 v105, v177, 0x3f6eb680, v209
	v_mul_f32_e32 v222, 0xbe3c28d5, v171
	v_mul_f32_e32 v245, 0x3f2c7751, v153
	v_fma_f32 v255, 0x3ee437d1, v164, -v254
	v_dual_mul_f32 v111, 0xbf06c442, v157 :: v_dual_mul_f32 v242, 0xbf06c442, v152
	v_add_f32_e32 v103, v105, v103
	v_fmamk_f32 v105, v178, 0x3ee437d1, v210
	v_mul_f32_e32 v224, 0x3f7ee86f, v172
	v_mul_f32_e32 v112, 0x3f65296c, v154
	;; [unrolled: 1-line block ×3, first 2 shown]
	s_delay_alu instid0(VALU_DEP_4)
	v_dual_mul_f32 v226, 0xbf4c4adb, v176 :: v_dual_add_f32 v103, v105, v103
	v_fmamk_f32 v105, v179, 0xbf59a7d5, v200
	v_mul_f32_e32 v249, 0x3f65296c, v156
	v_fmamk_f32 v109, v181, 0x3ee437d1, v112
	v_mul_f32_e32 v230, 0xbf7ee86f, v167
	v_mul_f32_e32 v251, 0xbf763a35, v151
	v_add_f32_e32 v103, v105, v103
	v_fmamk_f32 v105, v170, 0xbf1a4643, v202
	v_mul_f32_e32 v229, 0xbeb8f4ab, v155
	v_mul_f32_e32 v232, 0x3f4c4adb, v168
	;; [unrolled: 1-line block ×4, first 2 shown]
	v_add_f32_e32 v103, v105, v103
	v_fmamk_f32 v105, v175, 0x3f3d2fb0, v205
	v_mul_f32_e32 v234, 0xbeb8f4ab, v171
	v_mul_f32_e32 v233, 0x3f2c7751, v151
	;; [unrolled: 1-line block ×3, first 2 shown]
	s_delay_alu instid0(VALU_DEP_4) | instskip(SKIP_4) | instid1(VALU_DEP_4)
	v_dual_mul_f32 v239, 0x3f2c7751, v174 :: v_dual_add_f32 v104, v105, v103
	v_fmamk_f32 v103, v182, 0xbe8c1d8e, v115
	v_add_f32_e32 v105, v107, v106
	v_fma_f32 v106, 0xbf1a4643, v165, -v204
	v_fmamk_f32 v107, v181, 0xbf59a7d5, v116
	v_dual_mul_f32 v240, 0xbf763a35, v176 :: v_dual_add_f32 v103, v100, v103
	v_mul_f32_e32 v237, 0xbe3c28d5, v157
	s_delay_alu instid0(VALU_DEP_4) | instskip(SKIP_4) | instid1(VALU_DEP_4)
	v_add_f32_e32 v105, v106, v105
	v_fma_f32 v106, 0x3f3d2fb0, v166, -v199
	v_mul_f32_e32 v243, 0xbe3c28d5, v169
	v_add_f32_e32 v107, v107, v103
	v_mul_f32_e32 v248, 0xbf06c442, v167
	v_dual_fmamk_f32 v244, v180, 0xbf59a7d5, v242 :: v_dual_add_f32 v103, v106, v105
	v_fma_f32 v105, 0xbe8c1d8e, v159, -v214
	s_delay_alu instid0(VALU_DEP_4) | instskip(SKIP_2) | instid1(VALU_DEP_4)
	v_add_f32_e32 v106, v108, v107
	v_fma_f32 v108, 0xbf59a7d5, v160, -v216
	v_fmamk_f32 v107, v177, 0x3ee437d1, v215
	v_dual_mul_f32 v250, 0x3f2c7751, v168 :: v_dual_add_f32 v105, v99, v105
	v_mul_f32_e32 v252, 0xbf4c4adb, v171
	v_fma_f32 v208, 0xbf7ba420, v181, -v208
	s_delay_alu instid0(VALU_DEP_4) | instskip(NEXT) | instid1(VALU_DEP_4)
	v_dual_add_f32 v106, v107, v106 :: v_dual_fmamk_f32 v107, v178, 0xbf7ba420, v217
	v_add_f32_e32 v105, v108, v105
	v_fma_f32 v108, 0x3f3d2fb0, v161, -v218
	v_fma_f32 v112, 0x3ee437d1, v181, -v112
	v_fmac_f32_e32 v216, 0xbf59a7d5, v160
	v_add_f32_e32 v106, v107, v106
	v_fmamk_f32 v107, v179, 0x3dbcf732, v219
	v_add_f32_e32 v105, v108, v105
	v_fma_f32 v108, 0x3ee437d1, v162, -v220
	v_fma_f32 v118, 0x3dbcf732, v182, -v118
	;; [unrolled: 1-line block ×3, first 2 shown]
	v_dual_add_f32 v106, v107, v106 :: v_dual_fmamk_f32 v107, v170, 0x3f6eb680, v221
	s_delay_alu instid0(VALU_DEP_4)
	v_add_f32_e32 v105, v108, v105
	v_fma_f32 v108, 0xbf7ba420, v163, -v222
	v_fmac_f32_e32 v236, 0xbf7ba420, v164
	v_fma_f32 v210, 0x3ee437d1, v178, -v210
	v_add_f32_e32 v106, v107, v106
	v_fmamk_f32 v107, v175, 0xbf1a4643, v223
	v_add_f32_e32 v105, v108, v105
	v_fma_f32 v108, 0x3dbcf732, v164, -v224
	v_fma_f32 v190, 0xbf1a4643, v181, -v190
	v_fmac_f32_e32 v254, 0x3ee437d1, v164
	v_dual_add_f32 v106, v107, v106 :: v_dual_fmamk_f32 v107, v182, 0xbf59a7d5, v111
	s_delay_alu instid0(VALU_DEP_4)
	v_add_f32_e32 v105, v108, v105
	v_fma_f32 v108, 0x3f6eb680, v165, -v225
	v_fma_f32 v111, 0xbf59a7d5, v182, -v111
	v_fmac_f32_e32 v211, 0x3dbcf732, v159
	v_add_f32_e32 v107, v100, v107
	v_fma_f32 v202, 0xbf1a4643, v170, -v202
	v_add_f32_e32 v105, v108, v105
	v_fma_f32 v108, 0xbf1a4643, v166, -v226
	v_add_f32_e32 v111, v100, v111
	v_add_f32_e32 v107, v109, v107
	v_fmamk_f32 v109, v180, 0x3dbcf732, v113
	v_add_f32_e32 v211, v99, v211
	v_add_f32_e32 v105, v108, v105
	v_fma_f32 v108, 0xbf59a7d5, v159, -v114
	v_fmac_f32_e32 v114, 0xbf59a7d5, v159
	v_mul_f32_e32 v227, 0x3f4c4adb, v153
	v_dual_add_f32 v107, v109, v107 :: v_dual_fmac_f32 v228, 0x3ee437d1, v160
	s_delay_alu instid0(VALU_DEP_4) | instskip(NEXT) | instid1(VALU_DEP_3)
	v_add_f32_e32 v108, v99, v108
	v_dual_add_f32 v114, v99, v114 :: v_dual_fmamk_f32 v109, v177, 0xbf1a4643, v227
	v_add_f32_e32 v111, v112, v111
	v_fma_f32 v227, 0xbf1a4643, v177, -v227
	s_delay_alu instid0(VALU_DEP_4) | instskip(SKIP_4) | instid1(VALU_DEP_4)
	v_add_f32_e32 v108, v110, v108
	v_fma_f32 v110, 0x3dbcf732, v161, -v230
	v_add_f32_e32 v107, v109, v107
	v_fmamk_f32 v109, v178, 0x3f6eb680, v229
	v_fmac_f32_e32 v230, 0x3dbcf732, v161
	v_dual_fmac_f32 v201, 0xbe8c1d8e, v161 :: v_dual_add_f32 v108, v110, v108
	v_fma_f32 v110, 0xbf1a4643, v162, -v232
	s_delay_alu instid0(VALU_DEP_4)
	v_add_f32_e32 v107, v109, v107
	v_fmamk_f32 v109, v179, 0xbf7ba420, v231
	v_fmac_f32_e32 v232, 0xbf1a4643, v162
	v_fma_f32 v200, 0xbf59a7d5, v179, -v200
	v_add_f32_e32 v108, v110, v108
	v_fma_f32 v110, 0x3f6eb680, v163, -v234
	v_add_f32_e32 v107, v109, v107
	v_fmamk_f32 v109, v170, 0x3f3d2fb0, v233
	v_fmac_f32_e32 v234, 0x3f6eb680, v163
	s_delay_alu instid0(VALU_DEP_4) | instskip(SKIP_1) | instid1(VALU_DEP_4)
	v_dual_fmac_f32 v197, 0x3ee437d1, v159 :: v_dual_add_f32 v110, v110, v108
	v_fma_f32 v115, 0xbe8c1d8e, v182, -v115
	v_add_f32_e32 v107, v109, v107
	v_fmamk_f32 v109, v175, 0xbe8c1d8e, v235
	v_dual_fmac_f32 v185, 0xbf1a4643, v160 :: v_dual_add_f32 v56, v56, v99
	v_add_f32_e32 v110, v238, v110
	v_fma_f32 v238, 0x3f3d2fb0, v165, -v239
	v_add_f32_e32 v115, v100, v115
	v_fmac_f32_e32 v207, 0xbf59a7d5, v164
	v_fma_f32 v187, 0xbf59a7d5, v175, -v187
	v_fmac_f32_e32 v214, 0xbe8c1d8e, v159
	v_add_f32_e32 v110, v238, v110
	v_fma_f32 v238, 0xbe8c1d8e, v166, -v240
	v_fmac_f32_e32 v240, 0xbe8c1d8e, v166
	v_dual_add_f32 v108, v109, v107 :: v_dual_fmamk_f32 v107, v182, 0xbf7ba420, v237
	v_mul_f32_e32 v109, 0x3eb8f4ab, v154
	v_fma_f32 v237, 0xbf7ba420, v182, -v237
	v_add_f32_e32 v214, v99, v214
	v_fmac_f32_e32 v203, 0x3f6eb680, v162
	v_add_f32_e32 v107, v100, v107
	v_fmamk_f32 v241, v181, 0x3f6eb680, v109
	v_add_f32_e32 v237, v100, v237
	v_fma_f32 v109, 0x3f6eb680, v181, -v109
	v_add_f32_e32 v214, v216, v214
	s_delay_alu instid0(VALU_DEP_4)
	v_dual_fmac_f32 v224, 0x3dbcf732, v164 :: v_dual_add_f32 v241, v241, v107
	v_add_f32_e32 v107, v238, v110
	v_fma_f32 v110, 0xbf7ba420, v159, -v243
	v_mul_f32_e32 v238, 0x3eb8f4ab, v173
	v_fmac_f32_e32 v243, 0xbf7ba420, v159
	v_dual_add_f32 v241, v244, v241 :: v_dual_fmamk_f32 v244, v177, 0x3f3d2fb0, v245
	s_delay_alu instid0(VALU_DEP_4) | instskip(NEXT) | instid1(VALU_DEP_4)
	v_add_f32_e32 v110, v99, v110
	v_fma_f32 v247, 0x3f6eb680, v160, -v238
	v_add_f32_e32 v109, v109, v237
	v_fma_f32 v237, 0xbf59a7d5, v180, -v242
	v_dual_add_f32 v241, v244, v241 :: v_dual_fmamk_f32 v244, v178, 0xbf1a4643, v246
	s_delay_alu instid0(VALU_DEP_4) | instskip(SKIP_2) | instid1(VALU_DEP_4)
	v_add_f32_e32 v110, v247, v110
	v_fma_f32 v247, 0xbf59a7d5, v161, -v248
	v_dual_add_f32 v243, v99, v243 :: v_dual_fmac_f32 v238, 0x3f6eb680, v160
	v_dual_add_f32 v241, v244, v241 :: v_dual_fmamk_f32 v244, v179, 0x3ee437d1, v249
	s_delay_alu instid0(VALU_DEP_3) | instskip(SKIP_1) | instid1(VALU_DEP_4)
	v_add_f32_e32 v110, v247, v110
	v_fma_f32 v247, 0x3f3d2fb0, v162, -v250
	v_add_f32_e32 v238, v238, v243
	v_fmac_f32_e32 v248, 0xbf59a7d5, v161
	v_dual_add_f32 v241, v244, v241 :: v_dual_fmamk_f32 v244, v170, 0xbe8c1d8e, v251
	s_delay_alu instid0(VALU_DEP_4) | instskip(SKIP_1) | instid1(VALU_DEP_4)
	v_add_f32_e32 v110, v247, v110
	v_fma_f32 v247, 0xbf1a4643, v163, -v252
	v_add_f32_e32 v238, v248, v238
	s_delay_alu instid0(VALU_DEP_4) | instskip(SKIP_1) | instid1(VALU_DEP_4)
	v_dual_fmac_f32 v250, 0x3f3d2fb0, v162 :: v_dual_add_f32 v241, v244, v241
	v_fmamk_f32 v244, v175, 0x3dbcf732, v253
	v_dual_add_f32 v247, v247, v110 :: v_dual_fmac_f32 v252, 0xbf1a4643, v163
	s_delay_alu instid0(VALU_DEP_3) | instskip(SKIP_1) | instid1(VALU_DEP_4)
	v_add_f32_e32 v238, v250, v238
	v_fma_f32 v112, 0x3dbcf732, v180, -v113
	v_dual_add_f32 v110, v244, v241 :: v_dual_mul_f32 v241, 0xbf763a35, v174
	s_delay_alu instid0(VALU_DEP_4) | instskip(NEXT) | instid1(VALU_DEP_3)
	v_dual_add_f32 v244, v255, v247 :: v_dual_mul_f32 v247, 0x3f7ee86f, v176
	v_dual_add_f32 v111, v112, v111 :: v_dual_fmac_f32 v218, 0x3f3d2fb0, v161
	s_delay_alu instid0(VALU_DEP_3) | instskip(SKIP_2) | instid1(VALU_DEP_4)
	v_fma_f32 v242, 0xbe8c1d8e, v165, -v241
	v_fmac_f32_e32 v241, 0xbe8c1d8e, v165
	v_add_f32_e32 v113, v252, v238
	v_add_f32_e32 v111, v227, v111
	v_fma_f32 v227, 0x3f6eb680, v178, -v229
	v_add_f32_e32 v214, v218, v214
	v_add_f32_e32 v242, v242, v244
	;; [unrolled: 1-line block ×3, first 2 shown]
	v_fma_f32 v244, 0x3dbcf732, v166, -v247
	v_add_f32_e32 v227, v227, v111
	v_fmac_f32_e32 v247, 0x3dbcf732, v166
	v_fma_f32 v229, 0xbf7ba420, v179, -v231
	v_add_f32_e32 v113, v241, v113
	v_mul_f32_e32 v231, 0xbf1a4643, v182
	v_fmac_f32_e32 v222, 0xbf7ba420, v163
	v_fmac_f32_e32 v212, 0xbf7ba420, v160
	s_delay_alu instid0(VALU_DEP_4) | instskip(SKIP_4) | instid1(VALU_DEP_4)
	v_dual_fmac_f32 v226, 0xbf1a4643, v166 :: v_dual_add_f32 v111, v247, v113
	v_dual_add_f32 v113, v228, v114 :: v_dual_add_f32 v114, v229, v227
	v_fma_f32 v227, 0x3f3d2fb0, v170, -v233
	v_fmamk_f32 v228, v157, 0x3f4c4adb, v231
	v_mul_f32_e32 v229, 0xbe8c1d8e, v181
	v_dual_add_f32 v113, v230, v113 :: v_dual_mul_f32 v230, 0x3f6eb680, v180
	s_delay_alu instid0(VALU_DEP_3) | instskip(NEXT) | instid1(VALU_DEP_2)
	v_dual_add_f32 v114, v227, v114 :: v_dual_add_f32 v227, v100, v228
	v_dual_fmamk_f32 v228, v154, 0xbf763a35, v229 :: v_dual_add_f32 v113, v232, v113
	v_fma_f32 v232, 0xbe8c1d8e, v175, -v235
	v_dual_mul_f32 v233, 0xbf59a7d5, v177 :: v_dual_add_f32 v188, v100, v188
	s_delay_alu instid0(VALU_DEP_3) | instskip(NEXT) | instid1(VALU_DEP_4)
	v_add_f32_e32 v227, v228, v227
	v_dual_fmamk_f32 v228, v152, 0x3eb8f4ab, v230 :: v_dual_add_f32 v113, v234, v113
	v_fmac_f32_e32 v206, 0x3ee437d1, v163
	v_add_f32_e32 v114, v232, v114
	v_mul_f32_e32 v232, 0x3dbcf732, v178
	s_delay_alu instid0(VALU_DEP_4) | instskip(SKIP_4) | instid1(VALU_DEP_4)
	v_dual_add_f32 v188, v190, v188 :: v_dual_add_f32 v227, v228, v227
	v_fmamk_f32 v228, v153, 0x3f06c442, v233
	v_fma_f32 v190, 0xbf7ba420, v180, -v191
	v_add_f32_e32 v113, v236, v113
	v_dual_mul_f32 v234, 0xbf4c4adb, v169 :: v_dual_add_f32 v211, v212, v211
	v_dual_add_f32 v227, v228, v227 :: v_dual_fmac_f32 v204, 0xbf1a4643, v165
	v_fmamk_f32 v228, v155, 0xbf7ee86f, v232
	v_add_f32_e32 v188, v190, v188
	v_fma_f32 v190, 0xbe8c1d8e, v177, -v193
	v_mul_f32_e32 v235, 0x3f3d2fb0, v179
	v_dual_fmamk_f32 v236, v159, 0xbf1a4643, v234 :: v_dual_add_f32 v109, v237, v109
	v_fma_f32 v237, 0x3f3d2fb0, v177, -v245
	s_delay_alu instid0(VALU_DEP_4) | instskip(NEXT) | instid1(VALU_DEP_4)
	v_dual_add_f32 v227, v228, v227 :: v_dual_add_f32 v188, v190, v188
	v_fmamk_f32 v228, v156, 0x3f2c7751, v235
	v_fmac_f32_e32 v239, 0x3f3d2fb0, v165
	s_delay_alu instid0(VALU_DEP_4)
	v_add_f32_e32 v237, v237, v109
	v_fma_f32 v243, 0xbf1a4643, v178, -v246
	v_add_f32_e32 v201, v201, v211
	v_fma_f32 v190, 0x3f3d2fb0, v178, -v194
	v_add_f32_e32 v113, v239, v113
	v_dual_add_f32 v194, v99, v197 :: v_dual_add_f32 v57, v57, v100
	v_dual_fmac_f32 v232, 0x3f7ee86f, v155 :: v_dual_add_f32 v109, v244, v242
	v_fma_f32 v242, 0x3ee437d1, v179, -v249
	v_dual_add_f32 v201, v203, v201 :: v_dual_fmac_f32 v192, 0x3f3d2fb0, v163
	s_delay_alu instid0(VALU_DEP_4)
	v_dual_add_f32 v188, v190, v188 :: v_dual_add_f32 v185, v185, v194
	v_mul_f32_e32 v194, 0x3dbcf732, v181
	v_dual_add_f32 v113, v240, v113 :: v_dual_mul_f32 v240, 0x3ee437d1, v175
	v_add_f32_e32 v237, v243, v237
	v_add_f32_e32 v57, v59, v57
	v_mul_f32_e32 v243, 0xbf2c7751, v172
	v_add_f32_e32 v191, v206, v201
	v_fmamk_f32 v244, v158, 0xbf65296c, v240
	v_add_f32_e32 v237, v242, v237
	v_fma_f32 v242, 0xbe8c1d8e, v170, -v251
	v_add_f32_e32 v53, v53, v57
	v_fma_f32 v238, 0x3dbcf732, v175, -v253
	v_dual_add_f32 v193, v207, v191 :: v_dual_fmac_f32 v220, 0x3ee437d1, v162
	s_delay_alu instid0(VALU_DEP_4) | instskip(NEXT) | instid1(VALU_DEP_4)
	v_add_f32_e32 v237, v242, v237
	v_add_f32_e32 v53, v55, v53
	;; [unrolled: 1-line block ×3, first 2 shown]
	s_delay_alu instid0(VALU_DEP_4) | instskip(NEXT) | instid1(VALU_DEP_4)
	v_dual_add_f32 v193, v204, v193 :: v_dual_mul_f32 v206, 0x3f763a35, v172
	v_dual_add_f32 v112, v238, v237 :: v_dual_fmac_f32 v199, 0x3f3d2fb0, v166
	s_delay_alu instid0(VALU_DEP_3)
	v_dual_mul_f32 v197, 0x3f3d2fb0, v182 :: v_dual_add_f32 v52, v52, v55
	v_fma_f32 v184, 0x3f6eb680, v179, -v184
	v_mul_f32_e32 v237, 0x3f763a35, v173
	v_mul_f32_e32 v57, 0xbf59a7d5, v170
	v_add_f32_e32 v49, v49, v53
	v_dual_add_f32 v227, v228, v227 :: v_dual_fmac_f32 v186, 0xbf7ba420, v161
	v_add_f32_e32 v190, v199, v193
	v_add_f32_e32 v184, v184, v188
	v_fmamk_f32 v239, v160, 0xbe8c1d8e, v237
	v_fma_f32 v183, 0x3dbcf732, v170, -v183
	v_fmamk_f32 v58, v151, 0x3f06c442, v57
	v_fmamk_f32 v193, v157, 0x3f2c7751, v197
	v_add_f32_e32 v49, v51, v49
	v_dual_add_f32 v51, v54, v52 :: v_dual_mul_f32 v238, 0xbf7ba420, v170
	v_dual_add_f32 v236, v99, v236 :: v_dual_mul_f32 v241, 0xbeb8f4ab, v167
	v_add_f32_e32 v185, v186, v185
	v_dual_add_f32 v186, v100, v193 :: v_dual_mul_f32 v193, 0xbf1a4643, v180
	s_delay_alu instid0(VALU_DEP_4)
	v_dual_add_f32 v48, v48, v51 :: v_dual_add_f32 v183, v183, v184
	v_dual_mul_f32 v56, 0xbf65296c, v167 :: v_dual_add_f32 v45, v45, v49
	v_fmamk_f32 v228, v151, 0x3e3c28d5, v238
	v_add_f32_e32 v236, v239, v236
	v_mul_f32_e32 v242, 0xbf06c442, v168
	v_fma_f32 v116, 0xbf59a7d5, v181, -v116
	v_fmamk_f32 v188, v154, 0x3f7ee86f, v194
	v_fmamk_f32 v239, v161, 0x3f6eb680, v241
	;; [unrolled: 1-line block ×3, first 2 shown]
	v_fmac_f32_e32 v189, 0xbe8c1d8e, v162
	v_add_f32_e32 v45, v47, v45
	v_add_f32_e32 v47, v50, v48
	;; [unrolled: 1-line block ×3, first 2 shown]
	v_fma_f32 v213, 0x3f3d2fb0, v180, -v213
	v_dual_add_f32 v185, v189, v185 :: v_dual_add_f32 v186, v188, v186
	v_fmamk_f32 v188, v152, 0x3f4c4adb, v193
	v_dual_mul_f32 v189, 0xbf7ba420, v177 :: v_dual_add_f32 v44, v44, v47
	v_dual_add_f32 v227, v228, v227 :: v_dual_add_f32 v228, v239, v236
	v_fmamk_f32 v236, v162, 0xbf59a7d5, v242
	v_dual_mul_f32 v239, 0x3f7ee86f, v171 :: v_dual_add_f32 v184, v192, v185
	v_fmac_f32_e32 v195, 0x3f6eb680, v164
	v_dual_add_f32 v185, v188, v186 :: v_dual_mul_f32 v54, 0xbf763a35, v171
	s_delay_alu instid0(VALU_DEP_4) | instskip(NEXT) | instid1(VALU_DEP_4)
	v_add_f32_e32 v228, v236, v228
	v_fmamk_f32 v236, v163, 0x3dbcf732, v239
	v_dual_mul_f32 v188, 0xbf59a7d5, v178 :: v_dual_add_f32 v115, v213, v115
	v_add_f32_e32 v192, v195, v184
	v_fma_f32 v213, 0x3ee437d1, v177, -v215
	s_delay_alu instid0(VALU_DEP_4) | instskip(SKIP_2) | instid1(VALU_DEP_4)
	v_add_f32_e32 v228, v236, v228
	v_fmamk_f32 v186, v153, 0x3e3c28d5, v189
	v_add_f32_e32 v184, v187, v183
	v_dual_fmamk_f32 v236, v164, 0x3f3d2fb0, v243 :: v_dual_add_f32 v115, v213, v115
	v_fma_f32 v213, 0xbf7ba420, v178, -v217
	v_fmac_f32_e32 v198, 0x3dbcf732, v165
	v_add_f32_e32 v185, v186, v185
	s_delay_alu instid0(VALU_DEP_4)
	v_dual_add_f32 v215, v236, v228 :: v_dual_fmamk_f32 v186, v155, 0xbf06c442, v188
	v_dual_mul_f32 v195, 0xbe8c1d8e, v179 :: v_dual_add_f32 v44, v46, v44
	v_add_f32_e32 v115, v213, v115
	v_fma_f32 v213, 0x3dbcf732, v179, -v219
	v_mul_f32_e32 v187, 0xbf2c7751, v169
	v_add_f32_e32 v183, v198, v192
	v_dual_add_f32 v185, v186, v185 :: v_dual_mul_f32 v48, 0xbf4c4adb, v172
	s_delay_alu instid0(VALU_DEP_4)
	v_dual_fmamk_f32 v186, v156, 0xbf763a35, v195 :: v_dual_add_f32 v213, v213, v115
	v_fmac_f32_e32 v196, 0xbf59a7d5, v166
	v_dual_mul_f32 v199, 0xbf7ee86f, v173 :: v_dual_add_f32 v40, v40, v44
	v_fmamk_f32 v198, v159, 0x3f3d2fb0, v187
	v_add_f32_e32 v116, v244, v227
	v_mul_f32_e32 v49, 0xbf7ba420, v175
	v_dual_add_f32 v183, v196, v183 :: v_dual_mul_f32 v228, 0x3f65296c, v176
	s_delay_alu instid0(VALU_DEP_4)
	v_add_f32_e32 v196, v99, v198
	v_fmamk_f32 v198, v160, 0x3dbcf732, v199
	v_mul_f32_e32 v227, 0xbe3c28d5, v174
	v_mul_f32_e32 v192, 0x3ee437d1, v170
	v_fmamk_f32 v216, v166, 0x3ee437d1, v228
	v_fma_f32 v117, 0xbe8c1d8e, v180, -v117
	s_delay_alu instid0(VALU_DEP_4) | instskip(SKIP_3) | instid1(VALU_DEP_4)
	v_dual_add_f32 v196, v198, v196 :: v_dual_fmamk_f32 v217, v165, 0xbf7ba420, v227
	v_dual_add_f32 v45, v41, v45 :: v_dual_add_f32 v214, v220, v214
	v_fma_f32 v201, 0x3f3d2fb0, v175, -v205
	v_add_f32_e32 v185, v186, v185
	v_add_f32_e32 v215, v217, v215
	s_delay_alu instid0(VALU_DEP_4) | instskip(SKIP_2) | instid1(VALU_DEP_4)
	v_add_f32_e32 v43, v43, v45
	v_fma_f32 v217, 0x3f6eb680, v170, -v221
	v_add_f32_e32 v214, v222, v214
	v_dual_fmamk_f32 v186, v151, 0xbf65296c, v192 :: v_dual_add_f32 v115, v216, v215
	s_delay_alu instid0(VALU_DEP_4) | instskip(NEXT) | instid1(VALU_DEP_4)
	v_dual_add_f32 v216, v100, v118 :: v_dual_add_f32 v37, v37, v43
	v_add_f32_e32 v213, v217, v213
	v_fma_f32 v215, 0xbf1a4643, v175, -v223
	v_dual_fmac_f32 v225, 0x3f6eb680, v165 :: v_dual_mul_f32 v182, 0x3f6eb680, v182
	s_delay_alu instid0(VALU_DEP_4) | instskip(SKIP_2) | instid1(VALU_DEP_3)
	v_dual_add_f32 v208, v208, v216 :: v_dual_add_f32 v37, v39, v37
	v_add_f32_e32 v39, v42, v40
	v_dual_add_f32 v185, v186, v185 :: v_dual_mul_f32 v186, 0x3f6eb680, v175
	v_add_f32_e32 v117, v117, v208
	v_fma_f32 v208, 0x3f6eb680, v177, -v209
	s_delay_alu instid0(VALU_DEP_4) | instskip(SKIP_1) | instid1(VALU_DEP_3)
	v_dual_add_f32 v33, v33, v37 :: v_dual_add_f32 v36, v36, v39
	v_fma_f32 v37, 0xbf1a4643, v159, -v234
	v_dual_fmac_f32 v229, 0x3f763a35, v154 :: v_dual_add_f32 v208, v208, v117
	v_fmac_f32_e32 v231, 0xbf4c4adb, v157
	s_delay_alu instid0(VALU_DEP_4) | instskip(NEXT) | instid1(VALU_DEP_4)
	v_add_f32_e32 v33, v35, v33
	v_dual_add_f32 v35, v38, v36 :: v_dual_add_f32 v36, v99, v37
	s_delay_alu instid0(VALU_DEP_4) | instskip(NEXT) | instid1(VALU_DEP_4)
	v_add_f32_e32 v208, v210, v208
	v_add_f32_e32 v42, v100, v231
	v_mul_f32_e32 v204, 0x3f06c442, v171
	v_dual_mul_f32 v169, 0xbeb8f4ab, v169 :: v_dual_fmac_f32 v230, 0xbeb8f4ab, v152
	s_delay_alu instid0(VALU_DEP_3) | instskip(SKIP_2) | instid1(VALU_DEP_3)
	v_dual_add_f32 v200, v200, v208 :: v_dual_add_f32 v39, v229, v42
	v_fmamk_f32 v203, v157, 0x3eb8f4ab, v182
	v_dual_mul_f32 v181, 0x3f3d2fb0, v181 :: v_dual_add_f32 v32, v32, v35
	v_add_f32_e32 v200, v202, v200
	v_fma_f32 v37, 0xbe8c1d8e, v160, -v237
	v_dual_add_f32 v38, v230, v39 :: v_dual_fmac_f32 v233, 0xbf06c442, v153
	v_add_f32_e32 v1, v1, v33
	s_delay_alu instid0(VALU_DEP_4) | instskip(SKIP_3) | instid1(VALU_DEP_4)
	v_dual_add_f32 v191, v201, v200 :: v_dual_mul_f32 v200, 0xbf4c4adb, v167
	v_dual_add_f32 v118, v215, v213 :: v_dual_add_f32 v213, v224, v214
	v_mul_f32_e32 v201, 0xbe3c28d5, v168
	v_fmamk_f32 v205, v154, 0x3f2c7751, v181
	v_fmamk_f32 v198, v161, 0xbf1a4643, v200
	v_add_f32_e32 v33, v37, v36
	v_add_f32_e32 v36, v233, v38
	;; [unrolled: 1-line block ×3, first 2 shown]
	s_delay_alu instid0(VALU_DEP_4) | instskip(SKIP_1) | instid1(VALU_DEP_3)
	v_dual_mul_f32 v207, 0x3dbcf732, v177 :: v_dual_add_f32 v196, v198, v196
	v_dual_fmamk_f32 v198, v162, 0xbf7ba420, v201 :: v_dual_add_f32 v1, v3, v1
	v_add_f32_e32 v117, v226, v209
	v_add_f32_e32 v3, v34, v32
	v_fmamk_f32 v202, v158, 0xbeb8f4ab, v186
	s_delay_alu instid0(VALU_DEP_4) | instskip(SKIP_3) | instid1(VALU_DEP_3)
	v_add_f32_e32 v196, v198, v196
	v_fmamk_f32 v198, v163, 0xbf59a7d5, v204
	v_mul_f32_e32 v208, 0xbe8c1d8e, v178
	v_dual_add_f32 v0, v0, v3 :: v_dual_mul_f32 v173, 0xbf2c7751, v173
	v_dual_fmac_f32 v238, 0xbe3c28d5, v151 :: v_dual_add_f32 v177, v198, v196
	v_fmamk_f32 v196, v164, 0xbe8c1d8e, v206
	v_mul_f32_e32 v198, 0x3f65296c, v174
	v_fmac_f32_e32 v188, 0x3f06c442, v155
	v_mul_f32_e32 v55, 0xbf7ee86f, v168
	v_fmamk_f32 v47, v164, 0xbf1a4643, v48
	s_delay_alu instid0(VALU_DEP_4) | instskip(SKIP_3) | instid1(VALU_DEP_4)
	v_dual_add_f32 v177, v196, v177 :: v_dual_fmamk_f32 v178, v165, 0x3ee437d1, v198
	v_mul_f32_e32 v196, 0x3eb8f4ab, v176
	v_mul_f32_e32 v180, 0x3ee437d1, v180
	v_fma_f32 v35, 0x3f6eb680, v161, -v241
	v_dual_add_f32 v34, v232, v36 :: v_dual_add_f32 v177, v178, v177
	v_fmac_f32_e32 v240, 0x3f65296c, v158
	v_dual_add_f32 v178, v202, v185 :: v_dual_fmamk_f32 v185, v159, 0x3f6eb680, v169
	v_fma_f32 v38, 0x3f6eb680, v166, -v196
	v_add_f32_e32 v32, v35, v33
	v_fma_f32 v33, 0xbf59a7d5, v162, -v242
	s_delay_alu instid0(VALU_DEP_4) | instskip(SKIP_2) | instid1(VALU_DEP_4)
	v_dual_fmac_f32 v235, 0xbf2c7751, v156 :: v_dual_add_f32 v170, v99, v185
	v_fmamk_f32 v185, v160, 0x3f3d2fb0, v173
	v_fmac_f32_e32 v197, 0xbf2c7751, v157
	v_add_f32_e32 v3, v33, v32
	s_delay_alu instid0(VALU_DEP_4) | instskip(NEXT) | instid1(VALU_DEP_4)
	v_dual_add_f32 v33, v235, v34 :: v_dual_add_f32 v0, v2, v0
	v_add_f32_e32 v167, v185, v170
	v_fma_f32 v32, 0x3dbcf732, v163, -v239
	v_add_f32_e32 v34, v100, v197
	v_fmac_f32_e32 v194, 0xbf7ee86f, v154
	v_add_f32_e32 v2, v238, v33
	v_dual_add_f32 v52, v53, v167 :: v_dual_fmamk_f32 v53, v162, 0x3dbcf732, v55
	v_add_f32_e32 v3, v32, v3
	v_fma_f32 v32, 0x3f3d2fb0, v164, -v243
	v_add_f32_e32 v33, v194, v34
	v_fmac_f32_e32 v193, 0xbf4c4adb, v152
	v_dual_add_f32 v51, v53, v52 :: v_dual_fmamk_f32 v52, v163, 0xbe8c1d8e, v54
	s_delay_alu instid0(VALU_DEP_4) | instskip(SKIP_1) | instid1(VALU_DEP_4)
	v_add_f32_e32 v3, v32, v3
	v_fma_f32 v32, 0xbf7ba420, v165, -v227
	v_add_f32_e32 v33, v193, v33
	v_fmac_f32_e32 v189, 0xbe3c28d5, v153
	v_dual_add_f32 v51, v52, v51 :: v_dual_mul_f32 v52, 0xbf06c442, v174
	v_fma_f32 v34, 0x3f3d2fb0, v159, -v187
	v_mul_f32_e32 v179, 0xbf1a4643, v179
	v_add_f32_e32 v32, v32, v3
	s_delay_alu instid0(VALU_DEP_4) | instskip(NEXT) | instid1(VALU_DEP_4)
	v_add_f32_e32 v45, v47, v51
	v_dual_mul_f32 v47, 0xbe3c28d5, v176 :: v_dual_add_f32 v34, v99, v34
	v_dual_add_f32 v203, v100, v203 :: v_dual_fmamk_f32 v46, v165, 0xbf59a7d5, v52
	v_fma_f32 v36, 0x3ee437d1, v166, -v228
	s_delay_alu instid0(VALU_DEP_3) | instskip(NEXT) | instid1(VALU_DEP_3)
	v_dual_fmamk_f32 v44, v166, 0xbf7ba420, v47 :: v_dual_add_f32 v33, v189, v33
	v_add_f32_e32 v203, v205, v203
	v_fmamk_f32 v205, v152, 0x3f65296c, v180
	v_add_f32_e32 v43, v46, v45
	v_add_f32_e32 v3, v240, v2
	;; [unrolled: 1-line block ×3, first 2 shown]
	s_delay_alu instid0(VALU_DEP_4) | instskip(NEXT) | instid1(VALU_DEP_4)
	v_dual_add_f32 v32, v188, v33 :: v_dual_add_f32 v203, v205, v203
	v_dual_fmamk_f32 v205, v153, 0x3f7ee86f, v207 :: v_dual_add_f32 v40, v44, v43
	v_fma_f32 v35, 0x3dbcf732, v160, -v199
	v_fmac_f32_e32 v195, 0x3f763a35, v156
	v_fmamk_f32 v209, v166, 0x3f6eb680, v196
	s_delay_alu instid0(VALU_DEP_4) | instskip(SKIP_4) | instid1(VALU_DEP_4)
	v_add_f32_e32 v203, v205, v203
	v_fmamk_f32 v205, v155, 0x3f763a35, v208
	v_add_f32_e32 v34, v35, v34
	v_fma_f32 v35, 0xbf1a4643, v161, -v200
	v_fmac_f32_e32 v182, 0xbeb8f4ab, v157
	v_dual_add_f32 v32, v195, v32 :: v_dual_add_f32 v203, v205, v203
	v_fmamk_f32 v205, v156, 0x3f4c4adb, v179
	s_delay_alu instid0(VALU_DEP_3) | instskip(SKIP_2) | instid1(VALU_DEP_4)
	v_dual_add_f32 v177, v209, v177 :: v_dual_add_f32 v36, v100, v182
	v_add_f32_e32 v33, v35, v34
	v_fma_f32 v34, 0xbf7ba420, v162, -v201
	v_add_f32_e32 v59, v205, v203
	v_fma_f32 v35, 0x3f6eb680, v159, -v169
	v_fmac_f32_e32 v181, 0xbf2c7751, v154
	s_delay_alu instid0(VALU_DEP_4) | instskip(SKIP_1) | instid1(VALU_DEP_4)
	v_dual_fmac_f32 v180, 0xbf65296c, v152 :: v_dual_add_f32 v33, v34, v33
	v_fma_f32 v37, 0xbf59a7d5, v163, -v204
	v_add_f32_e32 v34, v99, v35
	v_fma_f32 v35, 0x3f3d2fb0, v160, -v173
	v_dual_add_f32 v36, v181, v36 :: v_dual_fmac_f32 v207, 0xbf7ee86f, v153
	s_delay_alu instid0(VALU_DEP_4) | instskip(SKIP_1) | instid1(VALU_DEP_4)
	v_add_f32_e32 v33, v37, v33
	v_fma_f32 v37, 0xbe8c1d8e, v164, -v206
	v_add_f32_e32 v34, v35, v34
	v_fma_f32 v35, 0x3ee437d1, v161, -v56
	v_add_f32_e32 v36, v180, v36
	s_delay_alu instid0(VALU_DEP_4) | instskip(SKIP_1) | instid1(VALU_DEP_4)
	v_dual_fmac_f32 v208, 0xbf763a35, v155 :: v_dual_add_f32 v33, v37, v33
	v_fma_f32 v37, 0x3ee437d1, v165, -v198
	v_add_f32_e32 v34, v35, v34
	v_fma_f32 v35, 0x3dbcf732, v162, -v55
	v_add_f32_e32 v36, v207, v36
	v_fmac_f32_e32 v179, 0xbf4c4adb, v156
	v_dual_add_f32 v37, v37, v33 :: v_dual_add_f32 v58, v58, v59
	s_delay_alu instid0(VALU_DEP_4)
	v_add_f32_e32 v34, v35, v34
	v_fma_f32 v35, 0xbe8c1d8e, v163, -v54
	v_add_f32_e32 v36, v208, v36
	v_fmac_f32_e32 v192, 0x3f65296c, v151
	v_fmac_f32_e32 v57, 0xbf06c442, v151
	;; [unrolled: 1-line block ×3, first 2 shown]
	v_add_f32_e32 v34, v35, v34
	v_fma_f32 v35, 0xbf1a4643, v164, -v48
	v_add_f32_e32 v33, v179, v36
	v_mul_lo_u16 v36, v137, 17
	v_fmamk_f32 v50, v158, 0x3e3c28d5, v49
	v_add_f32_e32 v32, v192, v32
	v_add_f32_e32 v34, v35, v34
	v_fma_f32 v35, 0xbf59a7d5, v165, -v52
	s_delay_alu instid0(VALU_DEP_4) | instskip(SKIP_2) | instid1(VALU_DEP_4)
	v_dual_add_f32 v41, v50, v58 :: v_dual_and_b32 v36, 0xffff, v36
	v_add_f32_e32 v39, v57, v33
	v_fmac_f32_e32 v49, 0xbe3c28d5, v158
	v_add_f32_e32 v34, v35, v34
	v_fma_f32 v42, 0xbf7ba420, v166, -v47
	v_lshl_add_u32 v36, v36, 3, v139
	v_add_f32_e32 v33, v186, v32
	v_dual_add_f32 v32, v38, v37 :: v_dual_add_f32 v35, v49, v39
	s_delay_alu instid0(VALU_DEP_4)
	v_add_f32_e32 v34, v42, v34
	ds_store_2addr_b64 v36, v[0:1], v[40:41] offset1:1
	ds_store_2addr_b64 v36, v[177:178], v[183:184] offset0:2 offset1:3
	ds_store_2addr_b64 v36, v[190:191], v[117:118] offset0:4 offset1:5
	;; [unrolled: 1-line block ×7, first 2 shown]
	ds_store_b64 v36, v[34:35] offset:128
.LBB0_13:
	s_wait_alu 0xfffe
	s_or_b32 exec_lo, exec_lo, s4
	v_add_nc_u32_e32 v0, 0x800, v140
	v_add_nc_u32_e32 v2, 0x1000, v140
	;; [unrolled: 1-line block ×3, first 2 shown]
	global_wb scope:SCOPE_SE
	s_wait_dscnt 0x0
	s_barrier_signal -1
	s_barrier_wait -1
	global_inv scope:SCOPE_SE
	ds_load_2addr_b64 v[32:35], v0 offset0:16 offset1:84
	ds_load_2addr_b64 v[36:39], v2 offset0:32 offset1:100
	;; [unrolled: 1-line block ×3, first 2 shown]
	ds_load_2addr_b64 v[44:47], v140 offset1:68
	ds_load_2addr_b64 v[48:51], v140 offset0:136 offset1:204
	ds_load_2addr_b64 v[52:55], v0 offset0:152 offset1:220
	ds_load_2addr_b64 v[56:59], v2 offset0:168 offset1:236
	ds_load_2addr_b64 v[99:102], v1 offset0:184 offset1:252
	global_wb scope:SCOPE_SE
	s_wait_dscnt 0x0
	s_barrier_signal -1
	s_barrier_wait -1
	global_inv scope:SCOPE_SE
	v_mul_f32_e32 v3, v13, v33
	v_mul_f32_e32 v103, v15, v37
	v_dual_mul_f32 v104, v68, v41 :: v_dual_mul_f32 v13, v13, v32
	v_mul_f32_e32 v106, v19, v39
	v_mul_f32_e32 v15, v15, v36
	v_dual_mul_f32 v68, v68, v40 :: v_dual_mul_f32 v105, v17, v35
	s_delay_alu instid0(VALU_DEP_4)
	v_dual_mul_f32 v17, v17, v34 :: v_dual_fmac_f32 v104, v67, v40
	v_fmac_f32_e32 v3, v12, v32
	v_dual_fmac_f32 v103, v14, v36 :: v_dual_mul_f32 v32, v11, v57
	v_mul_f32_e32 v19, v19, v38
	v_fma_f32 v12, v12, v33, -v13
	v_fmac_f32_e32 v105, v16, v34
	v_fmac_f32_e32 v106, v18, v38
	v_fma_f32 v13, v14, v37, -v15
	v_fma_f32 v15, v16, v35, -v17
	v_dual_mul_f32 v17, v66, v43 :: v_dual_mul_f32 v34, v64, v100
	v_fmac_f32_e32 v32, v10, v56
	v_fma_f32 v16, v18, v39, -v19
	v_mul_f32_e32 v19, v9, v53
	v_dual_mul_f32 v9, v9, v52 :: v_dual_mul_f32 v40, v62, v102
	v_fma_f32 v14, v67, v41, -v68
	s_delay_alu instid0(VALU_DEP_3) | instskip(NEXT) | instid1(VALU_DEP_3)
	v_dual_fmac_f32 v34, v63, v99 :: v_dual_fmac_f32 v19, v8, v52
	v_fma_f32 v33, v8, v53, -v9
	v_mul_f32_e32 v8, v11, v56
	v_mul_f32_e32 v18, v66, v42
	v_fmac_f32_e32 v17, v65, v42
	v_mul_f32_e32 v9, v64, v99
	v_mul_f32_e32 v35, v5, v55
	v_fma_f32 v36, v10, v57, -v8
	v_sub_f32_e32 v10, v45, v13
	v_dual_sub_f32 v8, v3, v104 :: v_dual_mul_f32 v5, v5, v54
	v_sub_f32_e32 v11, v12, v14
	v_fma_f32 v18, v65, v43, -v18
	s_delay_alu instid0(VALU_DEP_4)
	v_fma_f32 v13, v45, 2.0, -v10
	v_fmac_f32_e32 v35, v4, v54
	v_fma_f32 v3, v3, 2.0, -v8
	v_sub_f32_e32 v8, v10, v8
	v_fma_f32 v38, v4, v55, -v5
	v_fma_f32 v4, v12, 2.0, -v11
	v_mul_f32_e32 v12, v62, v101
	v_fma_f32 v37, v63, v100, -v9
	v_dual_sub_f32 v9, v44, v103 :: v_dual_sub_f32 v14, v105, v17
	v_dual_mul_f32 v39, v7, v59 :: v_dual_fmac_f32 v40, v61, v101
	s_delay_alu instid0(VALU_DEP_4) | instskip(NEXT) | instid1(VALU_DEP_3)
	v_fma_f32 v42, v61, v102, -v12
	v_fma_f32 v5, v44, 2.0, -v9
	s_delay_alu instid0(VALU_DEP_3) | instskip(SKIP_1) | instid1(VALU_DEP_3)
	v_dual_sub_f32 v44, v47, v16 :: v_dual_fmac_f32 v39, v6, v58
	v_dual_sub_f32 v16, v15, v18 :: v_dual_sub_f32 v45, v48, v32
	v_dual_sub_f32 v42, v38, v42 :: v_dual_sub_f32 v3, v5, v3
	s_delay_alu instid0(VALU_DEP_3)
	v_fma_f32 v18, v47, 2.0, -v44
	v_sub_f32_e32 v47, v49, v36
	v_dual_sub_f32 v36, v33, v37 :: v_dual_mul_f32 v7, v7, v58
	v_sub_f32_e32 v4, v13, v4
	v_fma_f32 v12, v15, 2.0, -v16
	v_fma_f32 v5, v5, 2.0, -v3
	s_delay_alu instid0(VALU_DEP_4) | instskip(SKIP_4) | instid1(VALU_DEP_4)
	v_fma_f32 v37, v33, 2.0, -v36
	v_sub_f32_e32 v43, v46, v106
	v_fma_f32 v41, v6, v59, -v7
	v_fma_f32 v6, v13, 2.0, -v4
	v_dual_sub_f32 v12, v18, v12 :: v_dual_add_f32 v7, v9, v11
	v_fma_f32 v13, v46, 2.0, -v43
	v_sub_f32_e32 v46, v19, v34
	v_fma_f32 v11, v105, 2.0, -v14
	v_fma_f32 v34, v48, 2.0, -v45
	v_dual_add_f32 v15, v43, v16 :: v_dual_sub_f32 v16, v44, v14
	v_sub_f32_e32 v48, v50, v39
	s_delay_alu instid0(VALU_DEP_4)
	v_sub_f32_e32 v11, v13, v11
	v_sub_f32_e32 v39, v35, v40
	v_fma_f32 v17, v19, 2.0, -v46
	v_fma_f32 v19, v49, 2.0, -v47
	;; [unrolled: 1-line block ×5, first 2 shown]
	v_sub_f32_e32 v49, v51, v41
	v_fma_f32 v41, v38, 2.0, -v42
	v_dual_sub_f32 v17, v34, v17 :: v_dual_add_f32 v36, v45, v36
	s_delay_alu instid0(VALU_DEP_4) | instskip(NEXT) | instid1(VALU_DEP_4)
	v_sub_f32_e32 v40, v44, v40
	v_fma_f32 v50, v51, 2.0, -v49
	v_fma_f32 v14, v18, 2.0, -v12
	v_sub_f32_e32 v18, v19, v37
	v_fma_f32 v32, v43, 2.0, -v15
	v_add_f32_e32 v42, v48, v42
	v_sub_f32_e32 v37, v47, v46
	v_sub_f32_e32 v41, v50, v41
	;; [unrolled: 1-line block ×3, first 2 shown]
	v_fma_f32 v9, v9, 2.0, -v7
	v_fma_f32 v10, v10, 2.0, -v8
	;; [unrolled: 1-line block ×11, first 2 shown]
	ds_store_2addr_b64 v146, v[5:6], v[9:10] offset1:17
	ds_store_2addr_b64 v146, v[3:4], v[7:8] offset0:34 offset1:51
	ds_store_2addr_b64 v145, v[13:14], v[32:33] offset1:17
	ds_store_2addr_b64 v145, v[11:12], v[15:16] offset0:34 offset1:51
	ds_store_2addr_b64 v143, v[34:35], v[38:39] offset1:17
	ds_store_2addr_b64 v143, v[17:18], v[36:37] offset0:34 offset1:51
	ds_store_2addr_b64 v142, v[44:45], v[46:47] offset1:17
	ds_store_2addr_b64 v142, v[40:41], v[42:43] offset0:34 offset1:51
	global_wb scope:SCOPE_SE
	s_wait_dscnt 0x0
	s_barrier_signal -1
	s_barrier_wait -1
	global_inv scope:SCOPE_SE
	ds_load_2addr_b64 v[3:6], v0 offset0:16 offset1:84
	ds_load_2addr_b64 v[7:10], v2 offset0:32 offset1:100
	;; [unrolled: 1-line block ×3, first 2 shown]
	ds_load_2addr_b64 v[15:18], v140 offset1:68
	ds_load_2addr_b64 v[32:35], v140 offset0:136 offset1:204
	ds_load_2addr_b64 v[36:39], v0 offset0:152 offset1:220
	;; [unrolled: 1-line block ×4, first 2 shown]
	global_wb scope:SCOPE_SE
	s_wait_dscnt 0x0
	s_barrier_signal -1
	s_barrier_wait -1
	global_inv scope:SCOPE_SE
	v_mul_f32_e32 v19, v29, v4
	v_dual_mul_f32 v49, v31, v8 :: v_dual_mul_f32 v48, v29, v3
	v_dual_mul_f32 v50, v31, v7 :: v_dual_mul_f32 v51, v74, v12
	s_delay_alu instid0(VALU_DEP_2) | instskip(SKIP_1) | instid1(VALU_DEP_1)
	v_fmac_f32_e32 v49, v30, v7
	v_mul_f32_e32 v7, v74, v11
	v_fma_f32 v7, v73, v12, -v7
	v_dual_mul_f32 v12, v27, v41 :: v_dual_fmac_f32 v19, v28, v3
	v_fma_f32 v3, v28, v4, -v48
	v_fma_f32 v4, v30, v8, -v50
	s_delay_alu instid0(VALU_DEP_3) | instskip(SKIP_2) | instid1(VALU_DEP_2)
	v_dual_fmac_f32 v51, v73, v11 :: v_dual_fmac_f32 v12, v26, v40
	v_mul_f32_e32 v8, v29, v6
	v_mul_f32_e32 v11, v29, v5
	v_dual_mul_f32 v29, v31, v10 :: v_dual_fmac_f32 v8, v28, v5
	v_mul_f32_e32 v31, v31, v9
	s_delay_alu instid0(VALU_DEP_3) | instskip(SKIP_1) | instid1(VALU_DEP_4)
	v_fma_f32 v11, v28, v6, -v11
	v_mul_f32_e32 v28, v25, v37
	v_fmac_f32_e32 v29, v30, v9
	v_mul_f32_e32 v5, v74, v13
	v_fma_f32 v9, v30, v10, -v31
	v_mul_f32_e32 v10, v74, v14
	v_mul_f32_e32 v6, v25, v36
	v_fmac_f32_e32 v28, v24, v36
	v_sub_f32_e32 v36, v19, v51
	v_mul_f32_e32 v25, v21, v39
	v_mul_f32_e32 v21, v21, v38
	v_fmac_f32_e32 v10, v73, v13
	v_fma_f32 v13, v73, v14, -v5
	v_fma_f32 v14, v24, v37, -v6
	v_mul_f32_e32 v24, v72, v45
	v_fma_f32 v30, v20, v39, -v21
	v_sub_f32_e32 v21, v16, v4
	v_fma_f32 v4, v19, 2.0, -v36
	s_delay_alu instid0(VALU_DEP_4) | instskip(SKIP_1) | instid1(VALU_DEP_2)
	v_dual_mul_f32 v19, v70, v46 :: v_dual_fmac_f32 v24, v71, v44
	v_dual_mul_f32 v6, v72, v44 :: v_dual_mul_f32 v31, v23, v43
	v_fma_f32 v37, v69, v47, -v19
	s_delay_alu instid0(VALU_DEP_3) | instskip(SKIP_1) | instid1(VALU_DEP_4)
	v_dual_sub_f32 v24, v28, v24 :: v_dual_sub_f32 v19, v17, v29
	v_sub_f32_e32 v29, v18, v9
	v_fmac_f32_e32 v31, v22, v42
	s_delay_alu instid0(VALU_DEP_2)
	v_fma_f32 v18, v18, 2.0, -v29
	v_mul_f32_e32 v5, v27, v40
	v_fma_f32 v27, v71, v45, -v6
	v_fma_f32 v6, v16, 2.0, -v21
	v_mul_f32_e32 v16, v23, v42
	v_fmac_f32_e32 v25, v20, v38
	v_fma_f32 v26, v26, v41, -v5
	v_sub_f32_e32 v20, v15, v49
	v_sub_f32_e32 v7, v3, v7
	v_fma_f32 v22, v22, v43, -v16
	v_sub_f32_e32 v16, v8, v10
	v_sub_f32_e32 v26, v33, v26
	v_fma_f32 v5, v15, 2.0, -v20
	v_fma_f32 v15, v3, 2.0, -v7
	v_sub_f32_e32 v38, v35, v22
	v_fma_f32 v10, v8, 2.0, -v16
	v_sub_f32_e32 v8, v21, v36
	s_delay_alu instid0(VALU_DEP_4) | instskip(SKIP_4) | instid1(VALU_DEP_4)
	v_dual_sub_f32 v3, v5, v4 :: v_dual_sub_f32 v4, v6, v15
	v_sub_f32_e32 v15, v11, v13
	v_fma_f32 v13, v17, 2.0, -v19
	v_dual_sub_f32 v36, v32, v12 :: v_dual_sub_f32 v27, v14, v27
	v_add_f32_e32 v7, v20, v7
	v_fma_f32 v17, v11, 2.0, -v15
	s_delay_alu instid0(VALU_DEP_4)
	v_sub_f32_e32 v11, v13, v10
	v_fma_f32 v10, v21, 2.0, -v8
	v_fma_f32 v21, v32, 2.0, -v36
	;; [unrolled: 1-line block ×3, first 2 shown]
	v_sub_f32_e32 v12, v18, v17
	v_fma_f32 v17, v28, 2.0, -v24
	v_fma_f32 v28, v33, 2.0, -v26
	v_dual_mul_f32 v23, v70, v47 :: v_dual_sub_f32 v16, v29, v16
	s_delay_alu instid0(VALU_DEP_4) | instskip(SKIP_1) | instid1(VALU_DEP_3)
	v_fma_f32 v14, v18, 2.0, -v12
	v_fma_f32 v9, v20, 2.0, -v7
	v_dual_sub_f32 v18, v28, v32 :: v_dual_fmac_f32 v23, v69, v46
	v_sub_f32_e32 v24, v26, v24
	v_fma_f32 v20, v29, 2.0, -v16
	v_sub_f32_e32 v33, v34, v31
	v_sub_f32_e32 v29, v30, v37
	;; [unrolled: 1-line block ×3, first 2 shown]
	v_add_f32_e32 v23, v36, v27
	v_fma_f32 v22, v28, 2.0, -v18
	v_fma_f32 v32, v34, 2.0, -v33
	v_fma_f32 v34, v35, 2.0, -v38
	v_fma_f32 v30, v30, 2.0, -v29
	v_fma_f32 v27, v25, 2.0, -v31
	v_fma_f32 v5, v5, 2.0, -v3
	v_fma_f32 v6, v6, 2.0, -v4
	s_delay_alu instid0(VALU_DEP_4)
	v_dual_sub_f32 v17, v21, v17 :: v_dual_sub_f32 v28, v34, v30
	v_sub_f32_e32 v30, v38, v31
	v_add_f32_e32 v15, v19, v15
	v_sub_f32_e32 v27, v32, v27
	v_add_f32_e32 v29, v33, v29
	v_fma_f32 v13, v13, 2.0, -v11
	v_fma_f32 v21, v21, 2.0, -v17
	;; [unrolled: 1-line block ×5, first 2 shown]
	ds_store_2addr_b64 v140, v[5:6], v[9:10] offset1:68
	v_add_nc_u32_e32 v5, 0x1000, v147
	v_fma_f32 v31, v32, 2.0, -v27
	v_fma_f32 v32, v34, 2.0, -v28
	v_fma_f32 v33, v33, 2.0, -v29
	v_fma_f32 v34, v38, 2.0, -v30
	ds_store_2addr_b64 v140, v[3:4], v[7:8] offset0:136 offset1:204
	v_add_nc_u32_e32 v3, 0x1800, v144
	ds_store_2addr_b64 v0, v[13:14], v[19:20] offset0:16 offset1:84
	ds_store_2addr_b64 v0, v[11:12], v[15:16] offset0:152 offset1:220
	;; [unrolled: 1-line block ×6, first 2 shown]
	global_wb scope:SCOPE_SE
	s_wait_dscnt 0x0
	s_barrier_signal -1
	s_barrier_wait -1
	global_inv scope:SCOPE_SE
	ds_load_2addr_b64 v[3:6], v2 offset0:32 offset1:100
	ds_load_2addr_b64 v[7:10], v2 offset0:168 offset1:236
	ds_load_2addr_b64 v[11:14], v140 offset1:68
	ds_load_2addr_b64 v[15:18], v1 offset0:48 offset1:116
	ds_load_2addr_b64 v[19:22], v140 offset0:136 offset1:204
	;; [unrolled: 1-line block ×5, first 2 shown]
	global_wb scope:SCOPE_SE
	s_wait_dscnt 0x0
	s_barrier_signal -1
	s_barrier_wait -1
	global_inv scope:SCOPE_SE
	v_mul_f32_e32 v35, v78, v4
	v_mul_f32_e32 v36, v78, v3
	v_dual_mul_f32 v37, v82, v6 :: v_dual_mul_f32 v38, v76, v7
	v_mul_f32_e32 v39, v80, v10
	s_delay_alu instid0(VALU_DEP_4) | instskip(NEXT) | instid1(VALU_DEP_4)
	v_fmac_f32_e32 v35, v77, v3
	v_fma_f32 v4, v77, v4, -v36
	v_dual_mul_f32 v3, v82, v5 :: v_dual_mul_f32 v36, v76, v8
	v_fma_f32 v38, v75, v8, -v38
	v_dual_mul_f32 v46, v80, v34 :: v_dual_fmac_f32 v39, v79, v9
	s_delay_alu instid0(VALU_DEP_3) | instskip(NEXT) | instid1(VALU_DEP_4)
	v_fma_f32 v6, v81, v6, -v3
	v_dual_fmac_f32 v36, v75, v7 :: v_dual_mul_f32 v3, v80, v9
	v_dual_mul_f32 v7, v80, v33 :: v_dual_mul_f32 v40, v78, v16
	v_dual_mul_f32 v41, v82, v18 :: v_dual_sub_f32 v4, v12, v4
	s_delay_alu instid0(VALU_DEP_3) | instskip(SKIP_1) | instid1(VALU_DEP_4)
	v_fma_f32 v42, v79, v10, -v3
	v_mul_f32_e32 v3, v82, v17
	v_fma_f32 v34, v79, v34, -v7
	v_fmac_f32_e32 v37, v81, v5
	v_mul_f32_e32 v5, v78, v15
	v_sub_f32_e32 v8, v14, v6
	v_fma_f32 v45, v81, v18, -v3
	v_sub_f32_e32 v10, v20, v38
	v_mul_f32_e32 v44, v76, v32
	v_fma_f32 v43, v77, v16, -v5
	v_dual_sub_f32 v16, v22, v42 :: v_dual_mul_f32 v5, v76, v31
	v_fmac_f32_e32 v40, v77, v15
	v_fmac_f32_e32 v41, v81, v17
	v_sub_f32_e32 v9, v19, v36
	v_fma_f32 v6, v12, 2.0, -v4
	v_fma_f32 v12, v14, 2.0, -v8
	v_sub_f32_e32 v15, v21, v39
	v_fma_f32 v14, v20, 2.0, -v10
	v_fma_f32 v20, v22, 2.0, -v16
	v_dual_sub_f32 v22, v26, v45 :: v_dual_sub_f32 v3, v11, v35
	v_dual_sub_f32 v34, v30, v34 :: v_dual_sub_f32 v7, v13, v37
	v_fmac_f32_e32 v44, v75, v31
	v_fma_f32 v32, v75, v32, -v5
	v_fmac_f32_e32 v46, v79, v33
	v_fma_f32 v5, v11, 2.0, -v3
	v_fma_f32 v11, v13, 2.0, -v7
	;; [unrolled: 1-line block ×3, first 2 shown]
	v_dual_sub_f32 v17, v23, v40 :: v_dual_sub_f32 v18, v24, v43
	v_fma_f32 v19, v21, 2.0, -v15
	v_sub_f32_e32 v21, v25, v41
	v_sub_f32_e32 v31, v27, v44
	v_dual_sub_f32 v32, v28, v32 :: v_dual_sub_f32 v33, v29, v46
	v_fma_f32 v23, v23, 2.0, -v17
	v_fma_f32 v24, v24, 2.0, -v18
	v_fma_f32 v25, v25, 2.0, -v21
	v_fma_f32 v26, v26, 2.0, -v22
	v_fma_f32 v27, v27, 2.0, -v31
	v_fma_f32 v28, v28, 2.0, -v32
	v_fma_f32 v29, v29, 2.0, -v33
	v_fma_f32 v30, v30, 2.0, -v34
	ds_store_2addr_b64 v140, v[5:6], v[11:12] offset1:68
	ds_store_2addr_b64 v0, v[3:4], v[7:8] offset0:16 offset1:84
	ds_store_2addr_b64 v140, v[13:14], v[19:20] offset0:136 offset1:204
	ds_store_2addr_b64 v0, v[9:10], v[15:16] offset0:152 offset1:220
	ds_store_2addr_b64 v2, v[23:24], v[25:26] offset0:32 offset1:100
	ds_store_2addr_b64 v1, v[17:18], v[21:22] offset0:48 offset1:116
	ds_store_2addr_b64 v2, v[27:28], v[29:30] offset0:168 offset1:236
	ds_store_2addr_b64 v1, v[31:32], v[33:34] offset0:184 offset1:252
	global_wb scope:SCOPE_SE
	s_wait_dscnt 0x0
	s_barrier_signal -1
	s_barrier_wait -1
	global_inv scope:SCOPE_SE
	ds_load_2addr_b64 v[3:6], v2 offset0:32 offset1:100
	ds_load_2addr_b64 v[7:10], v2 offset0:168 offset1:236
	ds_load_2addr_b64 v[11:14], v140 offset1:68
	ds_load_2addr_b64 v[15:18], v1 offset0:48 offset1:116
	ds_load_2addr_b64 v[19:22], v140 offset0:136 offset1:204
	;; [unrolled: 1-line block ×5, first 2 shown]
	s_wait_dscnt 0x7
	v_mul_f32_e32 v2, v98, v4
	s_wait_dscnt 0x6
	v_mul_f32_e32 v36, v86, v10
	v_mul_f32_e32 v0, v92, v5
	s_wait_dscnt 0x4
	v_dual_mul_f32 v38, v94, v18 :: v_dual_mul_f32 v37, v88, v16
	v_fmac_f32_e32 v2, v97, v3
	v_dual_mul_f32 v35, v98, v3 :: v_dual_fmac_f32 v36, v85, v9
	s_delay_alu instid0(VALU_DEP_3) | instskip(SKIP_2) | instid1(VALU_DEP_2)
	v_dual_mul_f32 v3, v92, v6 :: v_dual_fmac_f32 v38, v93, v17
	s_wait_dscnt 0x0
	v_dual_fmac_f32 v37, v87, v15 :: v_dual_mul_f32 v40, v84, v32
	v_dual_mul_f32 v42, v90, v34 :: v_dual_fmac_f32 v3, v91, v5
	v_fma_f32 v5, v91, v6, -v0
	v_mul_f32_e32 v0, v86, v9
	v_mul_f32_e32 v6, v90, v33
	v_fmac_f32_e32 v40, v83, v31
	v_fmac_f32_e32 v42, v89, v33
	v_sub_f32_e32 v5, v14, v5
	v_fma_f32 v39, v85, v10, -v0
	v_dual_mul_f32 v0, v94, v17 :: v_dual_add_nc_u32 v33, 0x1000, v148
	s_delay_alu instid0(VALU_DEP_3) | instskip(SKIP_1) | instid1(VALU_DEP_3)
	v_fma_f32 v9, v14, 2.0, -v5
	v_sub_f32_e32 v14, v23, v37
	v_fma_f32 v41, v93, v18, -v0
	v_sub_f32_e32 v18, v25, v38
	v_sub_f32_e32 v0, v11, v2
	v_fma_f32 v1, v97, v4, -v35
	v_mul_f32_e32 v35, v96, v8
	v_mul_f32_e32 v4, v96, v7
	s_delay_alu instid0(VALU_DEP_4) | instskip(NEXT) | instid1(VALU_DEP_4)
	v_fma_f32 v2, v11, 2.0, -v0
	v_sub_f32_e32 v1, v12, v1
	s_delay_alu instid0(VALU_DEP_4) | instskip(NEXT) | instid1(VALU_DEP_4)
	v_fmac_f32_e32 v35, v95, v7
	v_fma_f32 v7, v95, v8, -v4
	v_mul_f32_e32 v4, v88, v15
	s_delay_alu instid0(VALU_DEP_2) | instskip(NEXT) | instid1(VALU_DEP_2)
	v_sub_f32_e32 v7, v20, v7
	v_fma_f32 v15, v87, v16, -v4
	v_mul_f32_e32 v4, v84, v31
	s_delay_alu instid0(VALU_DEP_3) | instskip(NEXT) | instid1(VALU_DEP_3)
	v_fma_f32 v11, v20, 2.0, -v7
	v_sub_f32_e32 v15, v24, v15
	s_delay_alu instid0(VALU_DEP_3)
	v_fma_f32 v31, v83, v32, -v4
	v_fma_f32 v32, v89, v34, -v6
	v_sub_f32_e32 v4, v13, v3
	v_fma_f32 v3, v12, 2.0, -v1
	v_sub_f32_e32 v12, v21, v36
	v_fma_f32 v20, v23, 2.0, -v14
	v_sub_f32_e32 v32, v30, v32
	v_sub_f32_e32 v6, v19, v35
	v_fma_f32 v8, v13, 2.0, -v4
	v_sub_f32_e32 v13, v22, v39
	v_fma_f32 v16, v21, 2.0, -v12
	v_fma_f32 v21, v24, 2.0, -v15
	;; [unrolled: 1-line block ×3, first 2 shown]
	v_sub_f32_e32 v19, v26, v41
	v_fma_f32 v17, v22, 2.0, -v13
	v_fma_f32 v22, v25, 2.0, -v18
	v_dual_sub_f32 v24, v27, v40 :: v_dual_sub_f32 v25, v28, v31
	v_sub_f32_e32 v31, v29, v42
	v_fma_f32 v23, v26, 2.0, -v19
	ds_store_2addr_b64 v148, v[2:3], v[8:9] offset1:68
	v_add_nc_u32_e32 v2, 0x800, v148
	v_add_nc_u32_e32 v3, 0x1800, v148
	v_fma_f32 v26, v27, 2.0, -v24
	v_fma_f32 v27, v28, 2.0, -v25
	;; [unrolled: 1-line block ×4, first 2 shown]
	ds_store_2addr_b64 v33, v[0:1], v[4:5] offset0:32 offset1:100
	ds_store_2addr_b64 v148, v[10:11], v[16:17] offset0:136 offset1:204
	;; [unrolled: 1-line block ×5, first 2 shown]
	ds_store_b64 v148, v[26:27] offset:3264
	ds_store_b64 v150, v[24:25] offset:4352
	;; [unrolled: 1-line block ×4, first 2 shown]
	global_wb scope:SCOPE_SE
	s_wait_dscnt 0x0
	s_barrier_signal -1
	s_barrier_wait -1
	global_inv scope:SCOPE_SE
	s_and_b32 exec_lo, exec_lo, vcc_lo
	s_cbranch_execz .LBB0_15
; %bb.14:
	global_load_b64 v[0:1], v120, s[8:9]
	ds_load_b64 v[2:3], v138
	v_mad_co_u64_u32 v[6:7], null, s0, v137, 0
	s_mov_b32 s4, 0x1e1e1e1e
	s_mov_b32 s5, 0x3f4e1e1e
	s_wait_loadcnt_dscnt 0x0
	v_mul_f32_e32 v4, v3, v1
	v_mul_f32_e32 v1, v2, v1
	s_delay_alu instid0(VALU_DEP_2) | instskip(NEXT) | instid1(VALU_DEP_2)
	v_fmac_f32_e32 v4, v2, v0
	v_fma_f32 v2, v0, v3, -v1
	s_delay_alu instid0(VALU_DEP_2) | instskip(NEXT) | instid1(VALU_DEP_2)
	v_cvt_f64_f32_e32 v[0:1], v4
	v_cvt_f64_f32_e32 v[2:3], v2
	v_mad_co_u64_u32 v[4:5], null, s2, v60, 0
	s_wait_alu 0xfffe
	s_delay_alu instid0(VALU_DEP_3) | instskip(NEXT) | instid1(VALU_DEP_3)
	v_mul_f64_e32 v[0:1], s[4:5], v[0:1]
	v_mul_f64_e32 v[2:3], s[4:5], v[2:3]
	s_delay_alu instid0(VALU_DEP_2) | instskip(NEXT) | instid1(VALU_DEP_4)
	v_cvt_f32_f64_e32 v8, v[0:1]
	v_dual_mov_b32 v1, v7 :: v_dual_mov_b32 v0, v5
	s_delay_alu instid0(VALU_DEP_3) | instskip(NEXT) | instid1(VALU_DEP_2)
	v_cvt_f32_f64_e32 v9, v[2:3]
	v_mad_co_u64_u32 v[2:3], null, s3, v60, v[0:1]
	s_delay_alu instid0(VALU_DEP_1) | instskip(SKIP_1) | instid1(VALU_DEP_2)
	v_mad_co_u64_u32 v[0:1], null, s1, v137, v[1:2]
	v_mov_b32_e32 v5, v2
	v_mov_b32_e32 v7, v0
	s_delay_alu instid0(VALU_DEP_2) | instskip(NEXT) | instid1(VALU_DEP_2)
	v_lshlrev_b64_e32 v[0:1], 3, v[4:5]
	v_lshlrev_b64_e32 v[2:3], 3, v[6:7]
	s_delay_alu instid0(VALU_DEP_2) | instskip(NEXT) | instid1(VALU_DEP_3)
	v_add_co_u32 v0, vcc_lo, s12, v0
	v_add_co_ci_u32_e32 v1, vcc_lo, s13, v1, vcc_lo
	s_delay_alu instid0(VALU_DEP_2) | instskip(SKIP_1) | instid1(VALU_DEP_2)
	v_add_co_u32 v2, vcc_lo, v0, v2
	s_wait_alu 0xfffd
	v_add_co_ci_u32_e32 v3, vcc_lo, v1, v3, vcc_lo
	global_store_b64 v[2:3], v[8:9], off
	global_load_b64 v[11:12], v120, s[8:9] offset:512
	v_lshl_add_u32 v2, v136, 3, v141
	ds_load_2addr_stride64_b64 v[3:6], v2 offset0:1 offset1:2
	ds_load_2addr_stride64_b64 v[7:10], v2 offset0:3 offset1:4
	s_wait_loadcnt_dscnt 0x1
	v_mul_f32_e32 v13, v4, v12
	v_mul_f32_e32 v12, v3, v12
	s_delay_alu instid0(VALU_DEP_2) | instskip(NEXT) | instid1(VALU_DEP_2)
	v_fmac_f32_e32 v13, v3, v11
	v_fma_f32 v11, v11, v4, -v12
	s_delay_alu instid0(VALU_DEP_2) | instskip(NEXT) | instid1(VALU_DEP_2)
	v_cvt_f64_f32_e32 v[3:4], v13
	v_cvt_f64_f32_e32 v[11:12], v11
	v_mad_co_u64_u32 v[13:14], null, s0, v135, 0
	s_delay_alu instid0(VALU_DEP_3) | instskip(NEXT) | instid1(VALU_DEP_3)
	v_mul_f64_e32 v[3:4], s[4:5], v[3:4]
	v_mul_f64_e32 v[11:12], s[4:5], v[11:12]
	s_delay_alu instid0(VALU_DEP_2) | instskip(NEXT) | instid1(VALU_DEP_2)
	v_cvt_f32_f64_e32 v3, v[3:4]
	v_cvt_f32_f64_e32 v4, v[11:12]
	v_mov_b32_e32 v11, v14
	s_delay_alu instid0(VALU_DEP_1) | instskip(NEXT) | instid1(VALU_DEP_1)
	v_mad_co_u64_u32 v[11:12], null, s1, v135, v[11:12]
	v_mov_b32_e32 v14, v11
	s_delay_alu instid0(VALU_DEP_1) | instskip(NEXT) | instid1(VALU_DEP_1)
	v_lshlrev_b64_e32 v[11:12], 3, v[13:14]
	v_add_co_u32 v11, vcc_lo, v0, v11
	s_wait_alu 0xfffd
	s_delay_alu instid0(VALU_DEP_2)
	v_add_co_ci_u32_e32 v12, vcc_lo, v1, v12, vcc_lo
	global_store_b64 v[11:12], v[3:4], off
	global_load_b64 v[3:4], v120, s[8:9] offset:1024
	s_wait_loadcnt 0x0
	v_mul_f32_e32 v11, v6, v4
	v_mul_f32_e32 v4, v5, v4
	s_delay_alu instid0(VALU_DEP_2) | instskip(NEXT) | instid1(VALU_DEP_2)
	v_fmac_f32_e32 v11, v5, v3
	v_fma_f32 v5, v3, v6, -v4
	s_delay_alu instid0(VALU_DEP_2) | instskip(NEXT) | instid1(VALU_DEP_2)
	v_cvt_f64_f32_e32 v[3:4], v11
	v_cvt_f64_f32_e32 v[5:6], v5
	v_mad_co_u64_u32 v[11:12], null, s0, v134, 0
	s_delay_alu instid0(VALU_DEP_3) | instskip(NEXT) | instid1(VALU_DEP_3)
	v_mul_f64_e32 v[3:4], s[4:5], v[3:4]
	v_mul_f64_e32 v[5:6], s[4:5], v[5:6]
	s_delay_alu instid0(VALU_DEP_2) | instskip(NEXT) | instid1(VALU_DEP_2)
	v_cvt_f32_f64_e32 v3, v[3:4]
	v_cvt_f32_f64_e32 v4, v[5:6]
	v_mov_b32_e32 v5, v12
	s_delay_alu instid0(VALU_DEP_1) | instskip(NEXT) | instid1(VALU_DEP_1)
	v_mad_co_u64_u32 v[5:6], null, s1, v134, v[5:6]
	v_mov_b32_e32 v12, v5
	s_delay_alu instid0(VALU_DEP_1) | instskip(NEXT) | instid1(VALU_DEP_1)
	v_lshlrev_b64_e32 v[5:6], 3, v[11:12]
	v_add_co_u32 v5, vcc_lo, v0, v5
	s_wait_alu 0xfffd
	s_delay_alu instid0(VALU_DEP_2)
	v_add_co_ci_u32_e32 v6, vcc_lo, v1, v6, vcc_lo
	global_store_b64 v[5:6], v[3:4], off
	global_load_b64 v[3:4], v120, s[8:9] offset:1536
	s_wait_loadcnt_dscnt 0x0
	v_mul_f32_e32 v5, v8, v4
	v_mul_f32_e32 v4, v7, v4
	s_delay_alu instid0(VALU_DEP_2) | instskip(NEXT) | instid1(VALU_DEP_2)
	v_fmac_f32_e32 v5, v7, v3
	v_fma_f32 v6, v3, v8, -v4
	v_mad_co_u64_u32 v[7:8], null, s0, v133, 0
	s_delay_alu instid0(VALU_DEP_3) | instskip(NEXT) | instid1(VALU_DEP_3)
	v_cvt_f64_f32_e32 v[3:4], v5
	v_cvt_f64_f32_e32 v[5:6], v6
	s_delay_alu instid0(VALU_DEP_2) | instskip(NEXT) | instid1(VALU_DEP_2)
	v_mul_f64_e32 v[3:4], s[4:5], v[3:4]
	v_mul_f64_e32 v[5:6], s[4:5], v[5:6]
	s_delay_alu instid0(VALU_DEP_2) | instskip(NEXT) | instid1(VALU_DEP_2)
	v_cvt_f32_f64_e32 v3, v[3:4]
	v_cvt_f32_f64_e32 v4, v[5:6]
	v_mov_b32_e32 v5, v8
	s_delay_alu instid0(VALU_DEP_1) | instskip(NEXT) | instid1(VALU_DEP_1)
	v_mad_co_u64_u32 v[5:6], null, s1, v133, v[5:6]
	v_mov_b32_e32 v8, v5
	s_delay_alu instid0(VALU_DEP_1) | instskip(SKIP_1) | instid1(VALU_DEP_2)
	v_lshlrev_b64_e32 v[5:6], 3, v[7:8]
	v_mad_co_u64_u32 v[7:8], null, s0, v132, 0
	v_add_co_u32 v5, vcc_lo, v0, v5
	s_wait_alu 0xfffd
	s_delay_alu instid0(VALU_DEP_3)
	v_add_co_ci_u32_e32 v6, vcc_lo, v1, v6, vcc_lo
	global_store_b64 v[5:6], v[3:4], off
	global_load_b64 v[3:4], v120, s[8:9] offset:2048
	s_wait_loadcnt 0x0
	v_mul_f32_e32 v5, v10, v4
	v_mul_f32_e32 v4, v9, v4
	s_delay_alu instid0(VALU_DEP_2) | instskip(NEXT) | instid1(VALU_DEP_2)
	v_fmac_f32_e32 v5, v9, v3
	v_fma_f32 v6, v3, v10, -v4
	s_delay_alu instid0(VALU_DEP_2) | instskip(NEXT) | instid1(VALU_DEP_2)
	v_cvt_f64_f32_e32 v[3:4], v5
	v_cvt_f64_f32_e32 v[5:6], v6
	s_delay_alu instid0(VALU_DEP_2) | instskip(NEXT) | instid1(VALU_DEP_2)
	v_mul_f64_e32 v[3:4], s[4:5], v[3:4]
	v_mul_f64_e32 v[5:6], s[4:5], v[5:6]
	s_delay_alu instid0(VALU_DEP_2) | instskip(NEXT) | instid1(VALU_DEP_2)
	v_cvt_f32_f64_e32 v3, v[3:4]
	v_cvt_f32_f64_e32 v4, v[5:6]
	v_mov_b32_e32 v5, v8
	s_delay_alu instid0(VALU_DEP_1) | instskip(NEXT) | instid1(VALU_DEP_1)
	v_mad_co_u64_u32 v[5:6], null, s1, v132, v[5:6]
	v_mov_b32_e32 v8, v5
	s_delay_alu instid0(VALU_DEP_1) | instskip(NEXT) | instid1(VALU_DEP_1)
	v_lshlrev_b64_e32 v[5:6], 3, v[7:8]
	v_add_co_u32 v5, vcc_lo, v0, v5
	s_wait_alu 0xfffd
	s_delay_alu instid0(VALU_DEP_2)
	v_add_co_ci_u32_e32 v6, vcc_lo, v1, v6, vcc_lo
	global_store_b64 v[5:6], v[3:4], off
	global_load_b64 v[11:12], v120, s[8:9] offset:2560
	ds_load_2addr_stride64_b64 v[3:6], v2 offset0:5 offset1:6
	ds_load_2addr_stride64_b64 v[7:10], v2 offset0:7 offset1:8
	s_wait_loadcnt_dscnt 0x1
	v_mul_f32_e32 v13, v4, v12
	v_mul_f32_e32 v12, v3, v12
	s_delay_alu instid0(VALU_DEP_2) | instskip(NEXT) | instid1(VALU_DEP_2)
	v_fmac_f32_e32 v13, v3, v11
	v_fma_f32 v11, v11, v4, -v12
	s_delay_alu instid0(VALU_DEP_2) | instskip(NEXT) | instid1(VALU_DEP_2)
	v_cvt_f64_f32_e32 v[3:4], v13
	v_cvt_f64_f32_e32 v[11:12], v11
	v_mad_co_u64_u32 v[13:14], null, s0, v131, 0
	s_delay_alu instid0(VALU_DEP_3) | instskip(NEXT) | instid1(VALU_DEP_3)
	v_mul_f64_e32 v[3:4], s[4:5], v[3:4]
	v_mul_f64_e32 v[11:12], s[4:5], v[11:12]
	s_delay_alu instid0(VALU_DEP_2) | instskip(NEXT) | instid1(VALU_DEP_2)
	v_cvt_f32_f64_e32 v3, v[3:4]
	v_cvt_f32_f64_e32 v4, v[11:12]
	v_mov_b32_e32 v11, v14
	s_delay_alu instid0(VALU_DEP_1) | instskip(NEXT) | instid1(VALU_DEP_1)
	v_mad_co_u64_u32 v[11:12], null, s1, v131, v[11:12]
	v_mov_b32_e32 v14, v11
	s_delay_alu instid0(VALU_DEP_1) | instskip(NEXT) | instid1(VALU_DEP_1)
	v_lshlrev_b64_e32 v[11:12], 3, v[13:14]
	v_add_co_u32 v11, vcc_lo, v0, v11
	s_wait_alu 0xfffd
	s_delay_alu instid0(VALU_DEP_2)
	v_add_co_ci_u32_e32 v12, vcc_lo, v1, v12, vcc_lo
	global_store_b64 v[11:12], v[3:4], off
	global_load_b64 v[3:4], v120, s[8:9] offset:3072
	s_wait_loadcnt 0x0
	v_mul_f32_e32 v11, v6, v4
	v_mul_f32_e32 v4, v5, v4
	s_delay_alu instid0(VALU_DEP_2) | instskip(NEXT) | instid1(VALU_DEP_2)
	v_fmac_f32_e32 v11, v5, v3
	v_fma_f32 v5, v3, v6, -v4
	s_delay_alu instid0(VALU_DEP_2) | instskip(NEXT) | instid1(VALU_DEP_2)
	v_cvt_f64_f32_e32 v[3:4], v11
	v_cvt_f64_f32_e32 v[5:6], v5
	v_mad_co_u64_u32 v[11:12], null, s0, v130, 0
	s_delay_alu instid0(VALU_DEP_3) | instskip(NEXT) | instid1(VALU_DEP_3)
	v_mul_f64_e32 v[3:4], s[4:5], v[3:4]
	v_mul_f64_e32 v[5:6], s[4:5], v[5:6]
	s_delay_alu instid0(VALU_DEP_2) | instskip(NEXT) | instid1(VALU_DEP_2)
	v_cvt_f32_f64_e32 v3, v[3:4]
	v_cvt_f32_f64_e32 v4, v[5:6]
	v_mov_b32_e32 v5, v12
	s_delay_alu instid0(VALU_DEP_1) | instskip(NEXT) | instid1(VALU_DEP_1)
	v_mad_co_u64_u32 v[5:6], null, s1, v130, v[5:6]
	v_mov_b32_e32 v12, v5
	s_delay_alu instid0(VALU_DEP_1) | instskip(NEXT) | instid1(VALU_DEP_1)
	v_lshlrev_b64_e32 v[5:6], 3, v[11:12]
	v_add_co_u32 v5, vcc_lo, v0, v5
	s_wait_alu 0xfffd
	s_delay_alu instid0(VALU_DEP_2)
	v_add_co_ci_u32_e32 v6, vcc_lo, v1, v6, vcc_lo
	global_store_b64 v[5:6], v[3:4], off
	global_load_b64 v[3:4], v120, s[8:9] offset:3584
	s_wait_loadcnt_dscnt 0x0
	v_mul_f32_e32 v5, v8, v4
	v_mul_f32_e32 v4, v7, v4
	s_delay_alu instid0(VALU_DEP_2) | instskip(NEXT) | instid1(VALU_DEP_2)
	v_fmac_f32_e32 v5, v7, v3
	v_fma_f32 v6, v3, v8, -v4
	v_mad_co_u64_u32 v[7:8], null, s0, v129, 0
	s_delay_alu instid0(VALU_DEP_3) | instskip(NEXT) | instid1(VALU_DEP_3)
	v_cvt_f64_f32_e32 v[3:4], v5
	v_cvt_f64_f32_e32 v[5:6], v6
	s_delay_alu instid0(VALU_DEP_2) | instskip(NEXT) | instid1(VALU_DEP_2)
	v_mul_f64_e32 v[3:4], s[4:5], v[3:4]
	v_mul_f64_e32 v[5:6], s[4:5], v[5:6]
	s_delay_alu instid0(VALU_DEP_2) | instskip(NEXT) | instid1(VALU_DEP_2)
	v_cvt_f32_f64_e32 v3, v[3:4]
	v_cvt_f32_f64_e32 v4, v[5:6]
	v_mov_b32_e32 v5, v8
	s_delay_alu instid0(VALU_DEP_1) | instskip(NEXT) | instid1(VALU_DEP_1)
	v_mad_co_u64_u32 v[5:6], null, s1, v129, v[5:6]
	v_mov_b32_e32 v8, v5
	s_delay_alu instid0(VALU_DEP_1) | instskip(SKIP_1) | instid1(VALU_DEP_2)
	v_lshlrev_b64_e32 v[5:6], 3, v[7:8]
	v_mad_co_u64_u32 v[7:8], null, s0, v128, 0
	v_add_co_u32 v5, vcc_lo, v0, v5
	s_wait_alu 0xfffd
	s_delay_alu instid0(VALU_DEP_3)
	v_add_co_ci_u32_e32 v6, vcc_lo, v1, v6, vcc_lo
	global_store_b64 v[5:6], v[3:4], off
	global_load_b64 v[3:4], v120, s[8:9] offset:4096
	s_wait_loadcnt 0x0
	v_mul_f32_e32 v5, v10, v4
	v_mul_f32_e32 v4, v9, v4
	s_delay_alu instid0(VALU_DEP_2) | instskip(NEXT) | instid1(VALU_DEP_2)
	v_fmac_f32_e32 v5, v9, v3
	v_fma_f32 v6, v3, v10, -v4
	s_delay_alu instid0(VALU_DEP_2) | instskip(NEXT) | instid1(VALU_DEP_2)
	v_cvt_f64_f32_e32 v[3:4], v5
	v_cvt_f64_f32_e32 v[5:6], v6
	s_delay_alu instid0(VALU_DEP_2) | instskip(NEXT) | instid1(VALU_DEP_2)
	v_mul_f64_e32 v[3:4], s[4:5], v[3:4]
	v_mul_f64_e32 v[5:6], s[4:5], v[5:6]
	s_delay_alu instid0(VALU_DEP_2) | instskip(NEXT) | instid1(VALU_DEP_2)
	v_cvt_f32_f64_e32 v3, v[3:4]
	v_cvt_f32_f64_e32 v4, v[5:6]
	v_mov_b32_e32 v5, v8
	s_delay_alu instid0(VALU_DEP_1) | instskip(NEXT) | instid1(VALU_DEP_1)
	v_mad_co_u64_u32 v[5:6], null, s1, v128, v[5:6]
	v_mov_b32_e32 v8, v5
	s_delay_alu instid0(VALU_DEP_1) | instskip(NEXT) | instid1(VALU_DEP_1)
	v_lshlrev_b64_e32 v[5:6], 3, v[7:8]
	v_add_co_u32 v5, vcc_lo, v0, v5
	s_wait_alu 0xfffd
	s_delay_alu instid0(VALU_DEP_2)
	v_add_co_ci_u32_e32 v6, vcc_lo, v1, v6, vcc_lo
	global_store_b64 v[5:6], v[3:4], off
	global_load_b64 v[11:12], v120, s[8:9] offset:4608
	ds_load_2addr_stride64_b64 v[3:6], v2 offset0:9 offset1:10
	ds_load_2addr_stride64_b64 v[7:10], v2 offset0:11 offset1:12
	s_wait_loadcnt_dscnt 0x1
	v_mul_f32_e32 v13, v4, v12
	v_mul_f32_e32 v12, v3, v12
	s_delay_alu instid0(VALU_DEP_2) | instskip(NEXT) | instid1(VALU_DEP_2)
	v_fmac_f32_e32 v13, v3, v11
	v_fma_f32 v11, v11, v4, -v12
	s_delay_alu instid0(VALU_DEP_2) | instskip(NEXT) | instid1(VALU_DEP_2)
	v_cvt_f64_f32_e32 v[3:4], v13
	v_cvt_f64_f32_e32 v[11:12], v11
	v_mad_co_u64_u32 v[13:14], null, s0, v127, 0
	s_delay_alu instid0(VALU_DEP_3) | instskip(NEXT) | instid1(VALU_DEP_3)
	v_mul_f64_e32 v[3:4], s[4:5], v[3:4]
	v_mul_f64_e32 v[11:12], s[4:5], v[11:12]
	s_delay_alu instid0(VALU_DEP_2) | instskip(NEXT) | instid1(VALU_DEP_2)
	v_cvt_f32_f64_e32 v3, v[3:4]
	v_cvt_f32_f64_e32 v4, v[11:12]
	v_mov_b32_e32 v11, v14
	s_delay_alu instid0(VALU_DEP_1) | instskip(NEXT) | instid1(VALU_DEP_1)
	v_mad_co_u64_u32 v[11:12], null, s1, v127, v[11:12]
	v_mov_b32_e32 v14, v11
	s_delay_alu instid0(VALU_DEP_1) | instskip(SKIP_1) | instid1(VALU_DEP_2)
	v_lshlrev_b64_e32 v[11:12], 3, v[13:14]
	v_mad_co_u64_u32 v[13:14], null, s0, v123, 0
	v_add_co_u32 v11, vcc_lo, v0, v11
	s_wait_alu 0xfffd
	s_delay_alu instid0(VALU_DEP_3)
	v_add_co_ci_u32_e32 v12, vcc_lo, v1, v12, vcc_lo
	global_store_b64 v[11:12], v[3:4], off
	global_load_b64 v[3:4], v120, s[8:9] offset:5120
	s_wait_loadcnt 0x0
	v_mul_f32_e32 v11, v6, v4
	v_mul_f32_e32 v4, v5, v4
	s_delay_alu instid0(VALU_DEP_2) | instskip(NEXT) | instid1(VALU_DEP_2)
	v_fmac_f32_e32 v11, v5, v3
	v_fma_f32 v5, v3, v6, -v4
	s_delay_alu instid0(VALU_DEP_2) | instskip(NEXT) | instid1(VALU_DEP_2)
	v_cvt_f64_f32_e32 v[3:4], v11
	v_cvt_f64_f32_e32 v[5:6], v5
	v_mad_co_u64_u32 v[11:12], null, s0, v126, 0
	s_delay_alu instid0(VALU_DEP_3) | instskip(NEXT) | instid1(VALU_DEP_3)
	v_mul_f64_e32 v[3:4], s[4:5], v[3:4]
	v_mul_f64_e32 v[5:6], s[4:5], v[5:6]
	s_delay_alu instid0(VALU_DEP_2) | instskip(NEXT) | instid1(VALU_DEP_2)
	v_cvt_f32_f64_e32 v3, v[3:4]
	v_cvt_f32_f64_e32 v4, v[5:6]
	v_mov_b32_e32 v5, v12
	s_delay_alu instid0(VALU_DEP_1) | instskip(NEXT) | instid1(VALU_DEP_1)
	v_mad_co_u64_u32 v[5:6], null, s1, v126, v[5:6]
	v_mov_b32_e32 v12, v5
	s_delay_alu instid0(VALU_DEP_1) | instskip(NEXT) | instid1(VALU_DEP_1)
	v_lshlrev_b64_e32 v[5:6], 3, v[11:12]
	v_add_co_u32 v5, vcc_lo, v0, v5
	s_wait_alu 0xfffd
	s_delay_alu instid0(VALU_DEP_2)
	v_add_co_ci_u32_e32 v6, vcc_lo, v1, v6, vcc_lo
	global_store_b64 v[5:6], v[3:4], off
	global_load_b64 v[3:4], v120, s[8:9] offset:5632
	s_wait_loadcnt_dscnt 0x0
	v_mul_f32_e32 v5, v8, v4
	v_mul_f32_e32 v4, v7, v4
	s_delay_alu instid0(VALU_DEP_2) | instskip(NEXT) | instid1(VALU_DEP_2)
	v_fmac_f32_e32 v5, v7, v3
	v_fma_f32 v6, v3, v8, -v4
	v_mad_co_u64_u32 v[7:8], null, s0, v125, 0
	s_delay_alu instid0(VALU_DEP_3) | instskip(NEXT) | instid1(VALU_DEP_3)
	v_cvt_f64_f32_e32 v[3:4], v5
	v_cvt_f64_f32_e32 v[5:6], v6
	s_delay_alu instid0(VALU_DEP_2) | instskip(NEXT) | instid1(VALU_DEP_2)
	v_mul_f64_e32 v[3:4], s[4:5], v[3:4]
	v_mul_f64_e32 v[5:6], s[4:5], v[5:6]
	s_delay_alu instid0(VALU_DEP_2) | instskip(NEXT) | instid1(VALU_DEP_2)
	v_cvt_f32_f64_e32 v3, v[3:4]
	v_cvt_f32_f64_e32 v4, v[5:6]
	v_mov_b32_e32 v5, v8
	s_delay_alu instid0(VALU_DEP_1) | instskip(NEXT) | instid1(VALU_DEP_1)
	v_mad_co_u64_u32 v[5:6], null, s1, v125, v[5:6]
	v_mov_b32_e32 v8, v5
	s_delay_alu instid0(VALU_DEP_1) | instskip(SKIP_1) | instid1(VALU_DEP_2)
	v_lshlrev_b64_e32 v[5:6], 3, v[7:8]
	v_mad_co_u64_u32 v[7:8], null, s0, v124, 0
	v_add_co_u32 v5, vcc_lo, v0, v5
	s_wait_alu 0xfffd
	s_delay_alu instid0(VALU_DEP_3)
	v_add_co_ci_u32_e32 v6, vcc_lo, v1, v6, vcc_lo
	global_store_b64 v[5:6], v[3:4], off
	global_load_b64 v[3:4], v120, s[8:9] offset:6144
	s_wait_loadcnt 0x0
	v_mul_f32_e32 v5, v10, v4
	v_mul_f32_e32 v4, v9, v4
	s_delay_alu instid0(VALU_DEP_2) | instskip(NEXT) | instid1(VALU_DEP_2)
	v_fmac_f32_e32 v5, v9, v3
	v_fma_f32 v6, v3, v10, -v4
	s_delay_alu instid0(VALU_DEP_2) | instskip(NEXT) | instid1(VALU_DEP_2)
	v_cvt_f64_f32_e32 v[3:4], v5
	v_cvt_f64_f32_e32 v[5:6], v6
	s_delay_alu instid0(VALU_DEP_2) | instskip(NEXT) | instid1(VALU_DEP_2)
	v_mul_f64_e32 v[3:4], s[4:5], v[3:4]
	v_mul_f64_e32 v[5:6], s[4:5], v[5:6]
	s_delay_alu instid0(VALU_DEP_2) | instskip(NEXT) | instid1(VALU_DEP_2)
	v_cvt_f32_f64_e32 v3, v[3:4]
	v_cvt_f32_f64_e32 v4, v[5:6]
	v_mov_b32_e32 v5, v8
	s_delay_alu instid0(VALU_DEP_1) | instskip(NEXT) | instid1(VALU_DEP_1)
	v_mad_co_u64_u32 v[5:6], null, s1, v124, v[5:6]
	v_mov_b32_e32 v8, v5
	s_delay_alu instid0(VALU_DEP_1) | instskip(NEXT) | instid1(VALU_DEP_1)
	v_lshlrev_b64_e32 v[5:6], 3, v[7:8]
	v_add_co_u32 v5, vcc_lo, v0, v5
	s_wait_alu 0xfffd
	s_delay_alu instid0(VALU_DEP_2)
	v_add_co_ci_u32_e32 v6, vcc_lo, v1, v6, vcc_lo
	global_store_b64 v[5:6], v[3:4], off
	global_load_b64 v[11:12], v120, s[8:9] offset:6656
	ds_load_2addr_stride64_b64 v[3:6], v2 offset0:13 offset1:14
	ds_load_2addr_stride64_b64 v[7:10], v2 offset0:15 offset1:16
	s_wait_loadcnt_dscnt 0x1
	v_mul_f32_e32 v2, v4, v12
	v_mul_f32_e32 v12, v3, v12
	s_delay_alu instid0(VALU_DEP_2) | instskip(NEXT) | instid1(VALU_DEP_2)
	v_fmac_f32_e32 v2, v3, v11
	v_fma_f32 v4, v11, v4, -v12
	s_delay_alu instid0(VALU_DEP_2) | instskip(NEXT) | instid1(VALU_DEP_2)
	v_cvt_f64_f32_e32 v[2:3], v2
	v_cvt_f64_f32_e32 v[11:12], v4
	v_mov_b32_e32 v4, v14
	s_delay_alu instid0(VALU_DEP_3) | instskip(NEXT) | instid1(VALU_DEP_3)
	v_mul_f64_e32 v[2:3], s[4:5], v[2:3]
	v_mul_f64_e32 v[11:12], s[4:5], v[11:12]
	s_delay_alu instid0(VALU_DEP_2) | instskip(NEXT) | instid1(VALU_DEP_2)
	v_cvt_f32_f64_e32 v2, v[2:3]
	v_cvt_f32_f64_e32 v3, v[11:12]
	v_mad_co_u64_u32 v[11:12], null, s1, v123, v[4:5]
	s_delay_alu instid0(VALU_DEP_1) | instskip(NEXT) | instid1(VALU_DEP_1)
	v_mov_b32_e32 v14, v11
	v_lshlrev_b64_e32 v[11:12], 3, v[13:14]
	s_delay_alu instid0(VALU_DEP_1) | instskip(SKIP_1) | instid1(VALU_DEP_2)
	v_add_co_u32 v11, vcc_lo, v0, v11
	s_wait_alu 0xfffd
	v_add_co_ci_u32_e32 v12, vcc_lo, v1, v12, vcc_lo
	global_store_b64 v[11:12], v[2:3], off
	global_load_b64 v[2:3], v120, s[8:9] offset:7168
	v_mad_co_u64_u32 v[11:12], null, s0, v122, 0
	s_wait_loadcnt 0x0
	v_mul_f32_e32 v4, v6, v3
	v_mul_f32_e32 v3, v5, v3
	s_delay_alu instid0(VALU_DEP_2) | instskip(NEXT) | instid1(VALU_DEP_2)
	v_fmac_f32_e32 v4, v5, v2
	v_fma_f32 v5, v2, v6, -v3
	s_delay_alu instid0(VALU_DEP_2) | instskip(NEXT) | instid1(VALU_DEP_2)
	v_cvt_f64_f32_e32 v[2:3], v4
	v_cvt_f64_f32_e32 v[4:5], v5
	s_delay_alu instid0(VALU_DEP_2) | instskip(NEXT) | instid1(VALU_DEP_2)
	v_mul_f64_e32 v[2:3], s[4:5], v[2:3]
	v_mul_f64_e32 v[4:5], s[4:5], v[4:5]
	s_delay_alu instid0(VALU_DEP_2) | instskip(NEXT) | instid1(VALU_DEP_2)
	v_cvt_f32_f64_e32 v2, v[2:3]
	v_cvt_f32_f64_e32 v3, v[4:5]
	v_mov_b32_e32 v4, v12
	s_delay_alu instid0(VALU_DEP_1) | instskip(NEXT) | instid1(VALU_DEP_1)
	v_mad_co_u64_u32 v[4:5], null, s1, v122, v[4:5]
	v_mov_b32_e32 v12, v4
	s_delay_alu instid0(VALU_DEP_1) | instskip(NEXT) | instid1(VALU_DEP_1)
	v_lshlrev_b64_e32 v[4:5], 3, v[11:12]
	v_add_co_u32 v4, vcc_lo, v0, v4
	s_wait_alu 0xfffd
	s_delay_alu instid0(VALU_DEP_2)
	v_add_co_ci_u32_e32 v5, vcc_lo, v1, v5, vcc_lo
	global_store_b64 v[4:5], v[2:3], off
	global_load_b64 v[2:3], v120, s[8:9] offset:7680
	s_wait_loadcnt_dscnt 0x0
	v_mul_f32_e32 v4, v8, v3
	v_mul_f32_e32 v3, v7, v3
	s_delay_alu instid0(VALU_DEP_2) | instskip(NEXT) | instid1(VALU_DEP_2)
	v_fmac_f32_e32 v4, v7, v2
	v_fma_f32 v5, v2, v8, -v3
	v_mad_co_u64_u32 v[6:7], null, s0, v121, 0
	s_delay_alu instid0(VALU_DEP_3) | instskip(NEXT) | instid1(VALU_DEP_3)
	v_cvt_f64_f32_e32 v[2:3], v4
	v_cvt_f64_f32_e32 v[4:5], v5
	s_delay_alu instid0(VALU_DEP_2) | instskip(NEXT) | instid1(VALU_DEP_2)
	v_mul_f64_e32 v[2:3], s[4:5], v[2:3]
	v_mul_f64_e32 v[4:5], s[4:5], v[4:5]
	s_delay_alu instid0(VALU_DEP_2) | instskip(NEXT) | instid1(VALU_DEP_2)
	v_cvt_f32_f64_e32 v2, v[2:3]
	v_cvt_f32_f64_e32 v3, v[4:5]
	v_mov_b32_e32 v4, v7
	s_delay_alu instid0(VALU_DEP_1) | instskip(NEXT) | instid1(VALU_DEP_1)
	v_mad_co_u64_u32 v[4:5], null, s1, v121, v[4:5]
	v_mov_b32_e32 v7, v4
	s_delay_alu instid0(VALU_DEP_1) | instskip(SKIP_1) | instid1(VALU_DEP_2)
	v_lshlrev_b64_e32 v[4:5], 3, v[6:7]
	v_mad_co_u64_u32 v[6:7], null, s0, v119, 0
	v_add_co_u32 v4, vcc_lo, v0, v4
	s_wait_alu 0xfffd
	s_delay_alu instid0(VALU_DEP_3)
	v_add_co_ci_u32_e32 v5, vcc_lo, v1, v5, vcc_lo
	global_store_b64 v[4:5], v[2:3], off
	global_load_b64 v[2:3], v120, s[8:9] offset:8192
	s_wait_loadcnt 0x0
	v_mul_f32_e32 v4, v10, v3
	v_mul_f32_e32 v3, v9, v3
	s_delay_alu instid0(VALU_DEP_2) | instskip(NEXT) | instid1(VALU_DEP_2)
	v_fmac_f32_e32 v4, v9, v2
	v_fma_f32 v5, v2, v10, -v3
	s_delay_alu instid0(VALU_DEP_2) | instskip(NEXT) | instid1(VALU_DEP_2)
	v_cvt_f64_f32_e32 v[2:3], v4
	v_cvt_f64_f32_e32 v[4:5], v5
	s_delay_alu instid0(VALU_DEP_2) | instskip(NEXT) | instid1(VALU_DEP_2)
	v_mul_f64_e32 v[2:3], s[4:5], v[2:3]
	v_mul_f64_e32 v[4:5], s[4:5], v[4:5]
	s_delay_alu instid0(VALU_DEP_2) | instskip(NEXT) | instid1(VALU_DEP_2)
	v_cvt_f32_f64_e32 v2, v[2:3]
	v_cvt_f32_f64_e32 v3, v[4:5]
	v_mov_b32_e32 v4, v7
                                        ; kill: def $vgpr5 killed $sgpr0 killed $exec
	s_delay_alu instid0(VALU_DEP_1) | instskip(NEXT) | instid1(VALU_DEP_1)
	v_mad_co_u64_u32 v[4:5], null, s1, v119, v[4:5]
	v_mov_b32_e32 v7, v4
	s_delay_alu instid0(VALU_DEP_1) | instskip(NEXT) | instid1(VALU_DEP_1)
	v_lshlrev_b64_e32 v[4:5], 3, v[6:7]
	v_add_co_u32 v0, vcc_lo, v0, v4
	s_wait_alu 0xfffd
	s_delay_alu instid0(VALU_DEP_2)
	v_add_co_ci_u32_e32 v1, vcc_lo, v1, v5, vcc_lo
	global_store_b64 v[0:1], v[2:3], off
.LBB0_15:
	s_nop 0
	s_sendmsg sendmsg(MSG_DEALLOC_VGPRS)
	s_endpgm
	.section	.rodata,"a",@progbits
	.p2align	6, 0x0
	.amdhsa_kernel bluestein_single_fwd_len1088_dim1_sp_op_CI_CI
		.amdhsa_group_segment_fixed_size 26112
		.amdhsa_private_segment_fixed_size 0
		.amdhsa_kernarg_size 104
		.amdhsa_user_sgpr_count 2
		.amdhsa_user_sgpr_dispatch_ptr 0
		.amdhsa_user_sgpr_queue_ptr 0
		.amdhsa_user_sgpr_kernarg_segment_ptr 1
		.amdhsa_user_sgpr_dispatch_id 0
		.amdhsa_user_sgpr_private_segment_size 0
		.amdhsa_wavefront_size32 1
		.amdhsa_uses_dynamic_stack 0
		.amdhsa_enable_private_segment 0
		.amdhsa_system_sgpr_workgroup_id_x 1
		.amdhsa_system_sgpr_workgroup_id_y 0
		.amdhsa_system_sgpr_workgroup_id_z 0
		.amdhsa_system_sgpr_workgroup_info 0
		.amdhsa_system_vgpr_workitem_id 0
		.amdhsa_next_free_vgpr 256
		.amdhsa_next_free_sgpr 14
		.amdhsa_reserve_vcc 1
		.amdhsa_float_round_mode_32 0
		.amdhsa_float_round_mode_16_64 0
		.amdhsa_float_denorm_mode_32 3
		.amdhsa_float_denorm_mode_16_64 3
		.amdhsa_fp16_overflow 0
		.amdhsa_workgroup_processor_mode 1
		.amdhsa_memory_ordered 1
		.amdhsa_forward_progress 0
		.amdhsa_round_robin_scheduling 0
		.amdhsa_exception_fp_ieee_invalid_op 0
		.amdhsa_exception_fp_denorm_src 0
		.amdhsa_exception_fp_ieee_div_zero 0
		.amdhsa_exception_fp_ieee_overflow 0
		.amdhsa_exception_fp_ieee_underflow 0
		.amdhsa_exception_fp_ieee_inexact 0
		.amdhsa_exception_int_div_zero 0
	.end_amdhsa_kernel
	.text
.Lfunc_end0:
	.size	bluestein_single_fwd_len1088_dim1_sp_op_CI_CI, .Lfunc_end0-bluestein_single_fwd_len1088_dim1_sp_op_CI_CI
                                        ; -- End function
	.section	.AMDGPU.csdata,"",@progbits
; Kernel info:
; codeLenInByte = 23116
; NumSgprs: 16
; NumVgprs: 256
; ScratchSize: 0
; MemoryBound: 0
; FloatMode: 240
; IeeeMode: 1
; LDSByteSize: 26112 bytes/workgroup (compile time only)
; SGPRBlocks: 1
; VGPRBlocks: 31
; NumSGPRsForWavesPerEU: 16
; NumVGPRsForWavesPerEU: 256
; Occupancy: 5
; WaveLimiterHint : 1
; COMPUTE_PGM_RSRC2:SCRATCH_EN: 0
; COMPUTE_PGM_RSRC2:USER_SGPR: 2
; COMPUTE_PGM_RSRC2:TRAP_HANDLER: 0
; COMPUTE_PGM_RSRC2:TGID_X_EN: 1
; COMPUTE_PGM_RSRC2:TGID_Y_EN: 0
; COMPUTE_PGM_RSRC2:TGID_Z_EN: 0
; COMPUTE_PGM_RSRC2:TIDIG_COMP_CNT: 0
	.text
	.p2alignl 7, 3214868480
	.fill 96, 4, 3214868480
	.type	__hip_cuid_c048cb4c0e3df635,@object ; @__hip_cuid_c048cb4c0e3df635
	.section	.bss,"aw",@nobits
	.globl	__hip_cuid_c048cb4c0e3df635
__hip_cuid_c048cb4c0e3df635:
	.byte	0                               ; 0x0
	.size	__hip_cuid_c048cb4c0e3df635, 1

	.ident	"AMD clang version 19.0.0git (https://github.com/RadeonOpenCompute/llvm-project roc-6.4.0 25133 c7fe45cf4b819c5991fe208aaa96edf142730f1d)"
	.section	".note.GNU-stack","",@progbits
	.addrsig
	.addrsig_sym __hip_cuid_c048cb4c0e3df635
	.amdgpu_metadata
---
amdhsa.kernels:
  - .args:
      - .actual_access:  read_only
        .address_space:  global
        .offset:         0
        .size:           8
        .value_kind:     global_buffer
      - .actual_access:  read_only
        .address_space:  global
        .offset:         8
        .size:           8
        .value_kind:     global_buffer
      - .actual_access:  read_only
        .address_space:  global
        .offset:         16
        .size:           8
        .value_kind:     global_buffer
      - .actual_access:  read_only
        .address_space:  global
        .offset:         24
        .size:           8
        .value_kind:     global_buffer
      - .actual_access:  read_only
        .address_space:  global
        .offset:         32
        .size:           8
        .value_kind:     global_buffer
      - .offset:         40
        .size:           8
        .value_kind:     by_value
      - .address_space:  global
        .offset:         48
        .size:           8
        .value_kind:     global_buffer
      - .address_space:  global
        .offset:         56
        .size:           8
        .value_kind:     global_buffer
      - .address_space:  global
        .offset:         64
        .size:           8
        .value_kind:     global_buffer
      - .address_space:  global
        .offset:         72
        .size:           8
        .value_kind:     global_buffer
      - .offset:         80
        .size:           4
        .value_kind:     by_value
      - .address_space:  global
        .offset:         88
        .size:           8
        .value_kind:     global_buffer
      - .address_space:  global
        .offset:         96
        .size:           8
        .value_kind:     global_buffer
    .group_segment_fixed_size: 26112
    .kernarg_segment_align: 8
    .kernarg_segment_size: 104
    .language:       OpenCL C
    .language_version:
      - 2
      - 0
    .max_flat_workgroup_size: 204
    .name:           bluestein_single_fwd_len1088_dim1_sp_op_CI_CI
    .private_segment_fixed_size: 0
    .sgpr_count:     16
    .sgpr_spill_count: 0
    .symbol:         bluestein_single_fwd_len1088_dim1_sp_op_CI_CI.kd
    .uniform_work_group_size: 1
    .uses_dynamic_stack: false
    .vgpr_count:     256
    .vgpr_spill_count: 0
    .wavefront_size: 32
    .workgroup_processor_mode: 1
amdhsa.target:   amdgcn-amd-amdhsa--gfx1201
amdhsa.version:
  - 1
  - 2
...

	.end_amdgpu_metadata
